;; amdgpu-corpus repo=ROCm/rocFFT kind=compiled arch=gfx1030 opt=O3
	.text
	.amdgcn_target "amdgcn-amd-amdhsa--gfx1030"
	.amdhsa_code_object_version 6
	.protected	fft_rtc_fwd_len2430_factors_10_3_3_3_3_3_wgs_81_tpt_81_halfLds_half_ip_CI_unitstride_sbrr_dirReg ; -- Begin function fft_rtc_fwd_len2430_factors_10_3_3_3_3_3_wgs_81_tpt_81_halfLds_half_ip_CI_unitstride_sbrr_dirReg
	.globl	fft_rtc_fwd_len2430_factors_10_3_3_3_3_3_wgs_81_tpt_81_halfLds_half_ip_CI_unitstride_sbrr_dirReg
	.p2align	8
	.type	fft_rtc_fwd_len2430_factors_10_3_3_3_3_3_wgs_81_tpt_81_halfLds_half_ip_CI_unitstride_sbrr_dirReg,@function
fft_rtc_fwd_len2430_factors_10_3_3_3_3_3_wgs_81_tpt_81_halfLds_half_ip_CI_unitstride_sbrr_dirReg: ; @fft_rtc_fwd_len2430_factors_10_3_3_3_3_3_wgs_81_tpt_81_halfLds_half_ip_CI_unitstride_sbrr_dirReg
; %bb.0:
	s_clause 0x2
	s_load_dwordx4 s[8:11], s[4:5], 0x0
	s_load_dwordx2 s[2:3], s[4:5], 0x50
	s_load_dwordx2 s[12:13], s[4:5], 0x18
	v_mul_u32_u24_e32 v1, 0x32a, v0
	v_mov_b32_e32 v3, 0
	v_add_nc_u32_sdwa v5, s6, v1 dst_sel:DWORD dst_unused:UNUSED_PAD src0_sel:DWORD src1_sel:WORD_1
	v_mov_b32_e32 v1, 0
	v_mov_b32_e32 v6, v3
	v_mov_b32_e32 v2, 0
	s_waitcnt lgkmcnt(0)
	v_cmp_lt_u64_e64 s0, s[10:11], 2
	s_and_b32 vcc_lo, exec_lo, s0
	s_cbranch_vccnz .LBB0_8
; %bb.1:
	s_load_dwordx2 s[0:1], s[4:5], 0x10
	v_mov_b32_e32 v1, 0
	s_add_u32 s6, s12, 8
	v_mov_b32_e32 v2, 0
	s_addc_u32 s7, s13, 0
	s_mov_b64 s[16:17], 1
	s_waitcnt lgkmcnt(0)
	s_add_u32 s14, s0, 8
	s_addc_u32 s15, s1, 0
.LBB0_2:                                ; =>This Inner Loop Header: Depth=1
	s_load_dwordx2 s[18:19], s[14:15], 0x0
                                        ; implicit-def: $vgpr7_vgpr8
	s_mov_b32 s0, exec_lo
	s_waitcnt lgkmcnt(0)
	v_or_b32_e32 v4, s19, v6
	v_cmpx_ne_u64_e32 0, v[3:4]
	s_xor_b32 s1, exec_lo, s0
	s_cbranch_execz .LBB0_4
; %bb.3:                                ;   in Loop: Header=BB0_2 Depth=1
	v_cvt_f32_u32_e32 v4, s18
	v_cvt_f32_u32_e32 v7, s19
	s_sub_u32 s0, 0, s18
	s_subb_u32 s20, 0, s19
	v_fmac_f32_e32 v4, 0x4f800000, v7
	v_rcp_f32_e32 v4, v4
	v_mul_f32_e32 v4, 0x5f7ffffc, v4
	v_mul_f32_e32 v7, 0x2f800000, v4
	v_trunc_f32_e32 v7, v7
	v_fmac_f32_e32 v4, 0xcf800000, v7
	v_cvt_u32_f32_e32 v7, v7
	v_cvt_u32_f32_e32 v4, v4
	v_mul_lo_u32 v8, s0, v7
	v_mul_hi_u32 v9, s0, v4
	v_mul_lo_u32 v10, s20, v4
	v_add_nc_u32_e32 v8, v9, v8
	v_mul_lo_u32 v9, s0, v4
	v_add_nc_u32_e32 v8, v8, v10
	v_mul_hi_u32 v10, v4, v9
	v_mul_lo_u32 v11, v4, v8
	v_mul_hi_u32 v12, v4, v8
	v_mul_hi_u32 v13, v7, v9
	v_mul_lo_u32 v9, v7, v9
	v_mul_hi_u32 v14, v7, v8
	v_mul_lo_u32 v8, v7, v8
	v_add_co_u32 v10, vcc_lo, v10, v11
	v_add_co_ci_u32_e32 v11, vcc_lo, 0, v12, vcc_lo
	v_add_co_u32 v9, vcc_lo, v10, v9
	v_add_co_ci_u32_e32 v9, vcc_lo, v11, v13, vcc_lo
	v_add_co_ci_u32_e32 v10, vcc_lo, 0, v14, vcc_lo
	v_add_co_u32 v8, vcc_lo, v9, v8
	v_add_co_ci_u32_e32 v9, vcc_lo, 0, v10, vcc_lo
	v_add_co_u32 v4, vcc_lo, v4, v8
	v_add_co_ci_u32_e32 v7, vcc_lo, v7, v9, vcc_lo
	v_mul_hi_u32 v8, s0, v4
	v_mul_lo_u32 v10, s20, v4
	v_mul_lo_u32 v9, s0, v7
	v_add_nc_u32_e32 v8, v8, v9
	v_mul_lo_u32 v9, s0, v4
	v_add_nc_u32_e32 v8, v8, v10
	v_mul_hi_u32 v10, v4, v9
	v_mul_lo_u32 v11, v4, v8
	v_mul_hi_u32 v12, v4, v8
	v_mul_hi_u32 v13, v7, v9
	v_mul_lo_u32 v9, v7, v9
	v_mul_hi_u32 v14, v7, v8
	v_mul_lo_u32 v8, v7, v8
	v_add_co_u32 v10, vcc_lo, v10, v11
	v_add_co_ci_u32_e32 v11, vcc_lo, 0, v12, vcc_lo
	v_add_co_u32 v9, vcc_lo, v10, v9
	v_add_co_ci_u32_e32 v9, vcc_lo, v11, v13, vcc_lo
	v_add_co_ci_u32_e32 v10, vcc_lo, 0, v14, vcc_lo
	v_add_co_u32 v8, vcc_lo, v9, v8
	v_add_co_ci_u32_e32 v9, vcc_lo, 0, v10, vcc_lo
	v_add_co_u32 v4, vcc_lo, v4, v8
	v_add_co_ci_u32_e32 v11, vcc_lo, v7, v9, vcc_lo
	v_mul_hi_u32 v13, v5, v4
	v_mad_u64_u32 v[9:10], null, v6, v4, 0
	v_mad_u64_u32 v[7:8], null, v5, v11, 0
	;; [unrolled: 1-line block ×3, first 2 shown]
	v_add_co_u32 v4, vcc_lo, v13, v7
	v_add_co_ci_u32_e32 v7, vcc_lo, 0, v8, vcc_lo
	v_add_co_u32 v4, vcc_lo, v4, v9
	v_add_co_ci_u32_e32 v4, vcc_lo, v7, v10, vcc_lo
	v_add_co_ci_u32_e32 v7, vcc_lo, 0, v12, vcc_lo
	v_add_co_u32 v4, vcc_lo, v4, v11
	v_add_co_ci_u32_e32 v9, vcc_lo, 0, v7, vcc_lo
	v_mul_lo_u32 v10, s19, v4
	v_mad_u64_u32 v[7:8], null, s18, v4, 0
	v_mul_lo_u32 v11, s18, v9
	v_sub_co_u32 v7, vcc_lo, v5, v7
	v_add3_u32 v8, v8, v11, v10
	v_sub_nc_u32_e32 v10, v6, v8
	v_subrev_co_ci_u32_e64 v10, s0, s19, v10, vcc_lo
	v_add_co_u32 v11, s0, v4, 2
	v_add_co_ci_u32_e64 v12, s0, 0, v9, s0
	v_sub_co_u32 v13, s0, v7, s18
	v_sub_co_ci_u32_e32 v8, vcc_lo, v6, v8, vcc_lo
	v_subrev_co_ci_u32_e64 v10, s0, 0, v10, s0
	v_cmp_le_u32_e32 vcc_lo, s18, v13
	v_cmp_eq_u32_e64 s0, s19, v8
	v_cndmask_b32_e64 v13, 0, -1, vcc_lo
	v_cmp_le_u32_e32 vcc_lo, s19, v10
	v_cndmask_b32_e64 v14, 0, -1, vcc_lo
	v_cmp_le_u32_e32 vcc_lo, s18, v7
	;; [unrolled: 2-line block ×3, first 2 shown]
	v_cndmask_b32_e64 v15, 0, -1, vcc_lo
	v_cmp_eq_u32_e32 vcc_lo, s19, v10
	v_cndmask_b32_e64 v7, v15, v7, s0
	v_cndmask_b32_e32 v10, v14, v13, vcc_lo
	v_add_co_u32 v13, vcc_lo, v4, 1
	v_add_co_ci_u32_e32 v14, vcc_lo, 0, v9, vcc_lo
	v_cmp_ne_u32_e32 vcc_lo, 0, v10
	v_cndmask_b32_e32 v8, v14, v12, vcc_lo
	v_cndmask_b32_e32 v10, v13, v11, vcc_lo
	v_cmp_ne_u32_e32 vcc_lo, 0, v7
	v_cndmask_b32_e32 v8, v9, v8, vcc_lo
	v_cndmask_b32_e32 v7, v4, v10, vcc_lo
.LBB0_4:                                ;   in Loop: Header=BB0_2 Depth=1
	s_andn2_saveexec_b32 s0, s1
	s_cbranch_execz .LBB0_6
; %bb.5:                                ;   in Loop: Header=BB0_2 Depth=1
	v_cvt_f32_u32_e32 v4, s18
	s_sub_i32 s1, 0, s18
	v_rcp_iflag_f32_e32 v4, v4
	v_mul_f32_e32 v4, 0x4f7ffffe, v4
	v_cvt_u32_f32_e32 v4, v4
	v_mul_lo_u32 v7, s1, v4
	v_mul_hi_u32 v7, v4, v7
	v_add_nc_u32_e32 v4, v4, v7
	v_mul_hi_u32 v4, v5, v4
	v_mul_lo_u32 v7, v4, s18
	v_add_nc_u32_e32 v8, 1, v4
	v_sub_nc_u32_e32 v7, v5, v7
	v_subrev_nc_u32_e32 v9, s18, v7
	v_cmp_le_u32_e32 vcc_lo, s18, v7
	v_cndmask_b32_e32 v7, v7, v9, vcc_lo
	v_cndmask_b32_e32 v4, v4, v8, vcc_lo
	v_cmp_le_u32_e32 vcc_lo, s18, v7
	v_add_nc_u32_e32 v8, 1, v4
	v_cndmask_b32_e32 v7, v4, v8, vcc_lo
	v_mov_b32_e32 v8, v3
.LBB0_6:                                ;   in Loop: Header=BB0_2 Depth=1
	s_or_b32 exec_lo, exec_lo, s0
	s_load_dwordx2 s[0:1], s[6:7], 0x0
	v_mul_lo_u32 v4, v8, s18
	v_mul_lo_u32 v11, v7, s19
	v_mad_u64_u32 v[9:10], null, v7, s18, 0
	s_add_u32 s16, s16, 1
	s_addc_u32 s17, s17, 0
	s_add_u32 s6, s6, 8
	s_addc_u32 s7, s7, 0
	;; [unrolled: 2-line block ×3, first 2 shown]
	v_add3_u32 v4, v10, v11, v4
	v_sub_co_u32 v5, vcc_lo, v5, v9
	v_sub_co_ci_u32_e32 v4, vcc_lo, v6, v4, vcc_lo
	s_waitcnt lgkmcnt(0)
	v_mul_lo_u32 v6, s1, v5
	v_mul_lo_u32 v4, s0, v4
	v_mad_u64_u32 v[1:2], null, s0, v5, v[1:2]
	v_cmp_ge_u64_e64 s0, s[16:17], s[10:11]
	s_and_b32 vcc_lo, exec_lo, s0
	v_add3_u32 v2, v6, v2, v4
	s_cbranch_vccnz .LBB0_9
; %bb.7:                                ;   in Loop: Header=BB0_2 Depth=1
	v_mov_b32_e32 v5, v7
	v_mov_b32_e32 v6, v8
	s_branch .LBB0_2
.LBB0_8:
	v_mov_b32_e32 v8, v6
	v_mov_b32_e32 v7, v5
.LBB0_9:
	s_lshl_b64 s[0:1], s[10:11], 3
	v_mul_hi_u32 v5, 0x3291620, v0
	s_add_u32 s0, s12, s0
	s_addc_u32 s1, s13, s1
                                        ; implicit-def: $vgpr9
                                        ; implicit-def: $vgpr10
                                        ; implicit-def: $vgpr6
                                        ; implicit-def: $vgpr12
                                        ; implicit-def: $vgpr13
                                        ; implicit-def: $vgpr29
                                        ; implicit-def: $vgpr22
                                        ; implicit-def: $vgpr18
                                        ; implicit-def: $vgpr23
                                        ; implicit-def: $vgpr16
                                        ; implicit-def: $vgpr24
                                        ; implicit-def: $vgpr14
                                        ; implicit-def: $vgpr25
                                        ; implicit-def: $vgpr17
                                        ; implicit-def: $vgpr27
                                        ; implicit-def: $vgpr37
                                        ; implicit-def: $vgpr32
                                        ; implicit-def: $vgpr38
                                        ; implicit-def: $vgpr31
                                        ; implicit-def: $vgpr39
                                        ; implicit-def: $vgpr30
                                        ; implicit-def: $vgpr40
                                        ; implicit-def: $vgpr33
                                        ; implicit-def: $vgpr34
                                        ; implicit-def: $vgpr28
                                        ; implicit-def: $vgpr36
                                        ; implicit-def: $vgpr35
                                        ; implicit-def: $vgpr41
                                        ; implicit-def: $vgpr48
                                        ; implicit-def: $vgpr47
                                        ; implicit-def: $vgpr21
                                        ; implicit-def: $vgpr20
                                        ; implicit-def: $vgpr26
                                        ; implicit-def: $vgpr45
                                        ; implicit-def: $vgpr46
                                        ; implicit-def: $vgpr15
                                        ; implicit-def: $vgpr11
                                        ; implicit-def: $vgpr19
                                        ; implicit-def: $vgpr43
                                        ; implicit-def: $vgpr42
	s_load_dwordx2 s[0:1], s[0:1], 0x0
	s_load_dwordx2 s[4:5], s[4:5], 0x20
	s_waitcnt lgkmcnt(0)
	v_mul_lo_u32 v3, s0, v8
	v_mul_lo_u32 v4, s1, v7
	v_mad_u64_u32 v[1:2], null, s0, v7, v[1:2]
	v_cmp_gt_u64_e32 vcc_lo, s[4:5], v[7:8]
                                        ; implicit-def: $vgpr7
                                        ; implicit-def: $vgpr8
	v_add3_u32 v2, v4, v2, v3
	v_mul_u32_u24_e32 v4, 0x51, v5
                                        ; implicit-def: $vgpr5
	v_lshlrev_b64 v[2:3], 2, v[1:2]
	v_sub_nc_u32_e32 v0, v0, v4
                                        ; implicit-def: $vgpr1
                                        ; implicit-def: $vgpr4
	s_and_saveexec_b32 s1, vcc_lo
	s_cbranch_execz .LBB0_11
; %bb.10:
	v_mov_b32_e32 v1, 0
	v_lshlrev_b64 v[4:5], 2, v[0:1]
	v_add_co_u32 v1, s0, s2, v2
	v_add_co_ci_u32_e64 v6, s0, s3, v3, s0
	v_add_co_u32 v4, s0, v1, v4
	v_add_co_ci_u32_e64 v5, s0, v6, v5, s0
	v_add_co_u32 v6, s0, 0x800, v4
	v_add_co_ci_u32_e64 v7, s0, 0, v5, s0
	v_add_co_u32 v12, s0, 0x1000, v4
	v_add_co_ci_u32_e64 v13, s0, 0, v5, s0
	v_add_co_u32 v22, s0, 0x1800, v4
	v_add_co_ci_u32_e64 v23, s0, 0, v5, s0
	v_add_co_u32 v24, s0, 0x2000, v4
	v_add_co_ci_u32_e64 v25, s0, 0, v5, s0
	s_clause 0x1d
	global_load_dword v28, v[4:5], off
	global_load_dword v27, v[4:5], off offset:324
	global_load_dword v17, v[6:7], off offset:220
	;; [unrolled: 1-line block ×29, first 2 shown]
	s_waitcnt vmcnt(29)
	v_lshrrev_b32_e32 v34, 16, v28
	s_waitcnt vmcnt(28)
	v_lshrrev_b32_e32 v4, 16, v27
	;; [unrolled: 2-line block ×15, first 2 shown]
.LBB0_11:
	s_or_b32 exec_lo, exec_lo, s1
	v_add_f16_e32 v44, v31, v30
	v_sub_f16_e32 v51, v40, v37
	v_add_f16_e32 v54, v32, v33
	v_add_f16_e32 v50, v33, v28
	v_sub_f16_e32 v52, v39, v38
	v_fma_f16 v44, -0.5, v44, v28
	v_sub_f16_e32 v53, v33, v30
	v_sub_f16_e32 v55, v32, v31
	;; [unrolled: 1-line block ×4, first 2 shown]
	v_fmamk_f16 v49, v51, 0x3b9c, v44
	v_fmac_f16_e32 v28, -0.5, v54
	v_fmac_f16_e32 v44, 0xbb9c, v51
	v_add_f16_e32 v53, v55, v53
	s_waitcnt vmcnt(2)
	v_add_f16_e32 v54, v36, v41
	v_fmac_f16_e32 v49, 0x38b4, v52
	v_fmamk_f16 v55, v52, 0xbb9c, v28
	v_fmac_f16_e32 v28, 0x3b9c, v52
	v_fmac_f16_e32 v44, 0xb8b4, v52
	v_add_f16_e32 v52, v57, v56
	v_pk_add_f16 v56, v48, v41 neg_lo:[0,1] neg_hi:[0,1]
	v_pk_add_f16 v57, v35, v36 neg_lo:[0,1] neg_hi:[0,1]
	;; [unrolled: 1-line block ×4, first 2 shown]
	v_fmac_f16_e32 v49, 0x34f2, v53
	v_fmac_f16_e32 v55, 0x38b4, v51
	v_pk_add_f16 v56, v57, v56
	v_pk_add_f16 v57, v35, v48
	v_fmac_f16_e32 v28, 0xb8b4, v51
	v_fma_f16 v51, -0.5, v54, v47
	v_lshrrev_b32_e32 v54, 16, v58
	v_fmac_f16_e32 v44, 0x34f2, v53
	v_lshrrev_b32_e32 v53, 16, v47
	v_add_f16_sdwa v60, v36, v41 dst_sel:DWORD dst_unused:UNUSED_PAD src0_sel:WORD_1 src1_sel:WORD_1
	v_pk_fma_f16 v57, v57, 0.5, v47 op_sel_hi:[1,0,1] neg_lo:[1,0,0] neg_hi:[1,0,0]
	v_pk_mul_f16 v62, 0x3b9c, v59 op_sel_hi:[0,1]
	v_fmac_f16_e32 v55, 0x34f2, v52
	v_fmac_f16_e32 v28, 0x34f2, v52
	v_fmamk_f16 v52, v54, 0x3b9c, v51
	v_pk_add_f16 v61, v41, v48 neg_lo:[0,1] neg_hi:[0,1]
	v_pk_add_f16 v63, v36, v35 neg_lo:[0,1] neg_hi:[0,1]
	v_fmac_f16_e32 v51, 0xbb9c, v54
	v_add_f16_sdwa v54, v48, v53 dst_sel:DWORD dst_unused:UNUSED_PAD src0_sel:WORD_1 src1_sel:DWORD
	v_fmac_f16_e32 v53, -0.5, v60
	v_pk_add_f16 v60, v62, v57 op_sel:[1,0] op_sel_hi:[0,1]
	v_pk_add_f16 v57, v57, v62 op_sel:[0,1] op_sel_hi:[1,0] neg_lo:[0,1] neg_hi:[0,1]
	v_sub_f16_sdwa v62, v48, v41 dst_sel:DWORD dst_unused:UNUSED_PAD src0_sel:WORD_1 src1_sel:WORD_1
	v_add_f16_e32 v47, v48, v47
	v_bfi_b32 v48, 0xffff, v56, v59
	v_pk_mul_f16 v64, 0x38b4, v58 op_sel_hi:[0,1]
	v_pk_add_f16 v61, v63, v61
	v_sub_f16_sdwa v63, v35, v36 dst_sel:DWORD dst_unused:UNUSED_PAD src0_sel:WORD_1 src1_sel:WORD_1
	v_add_f16_e32 v50, v30, v50
	v_pk_mul_f16 v48, 0x38b434f2, v48
	v_pk_add_f16 v60, v60, v64 op_sel:[0,1] op_sel_hi:[1,0] neg_lo:[0,1] neg_hi:[0,1]
	v_pk_add_f16 v57, v64, v57 op_sel:[1,0] op_sel_hi:[0,1]
	v_add_f16_e32 v56, v63, v62
	v_fmamk_f16 v62, v58, 0xbb9c, v53
	v_add_f16_e32 v47, v41, v47
	v_add_f16_sdwa v52, v48, v52 dst_sel:DWORD dst_unused:UNUSED_PAD src0_sel:WORD_1 src1_sel:DWORD
	v_fmac_f16_e32 v53, 0x3b9c, v58
	v_add_f16_e32 v50, v31, v50
	v_pk_fma_f16 v58, 0x34f2, v61, v60 op_sel_hi:[0,1,1]
	v_add_f16_e32 v47, v36, v47
	v_pk_fma_f16 v57, 0x34f2, v61, v57 op_sel_hi:[0,1,1]
	v_sub_f16_sdwa v51, v51, v48 dst_sel:DWORD dst_unused:UNUSED_PAD src0_sel:DWORD src1_sel:WORD_1
	v_add_f16_e32 v52, v48, v52
	v_fmac_f16_e32 v62, 0xb8b4, v59
	v_add_f16_e32 v50, v32, v50
	v_add_f16_e32 v47, v35, v47
	v_fmac_f16_e32 v53, 0x38b4, v59
	v_add_f16_e32 v68, v48, v51
	v_mul_f16_e32 v48, 0x34f2, v57
	v_lshrrev_b32_e32 v51, 16, v58
	v_fmac_f16_e32 v62, 0x34f2, v56
	v_mul_f16_e32 v59, 0x3a79, v52
	v_mul_f16_e32 v60, 0x34f2, v58
	v_lshrrev_b32_e32 v61, 16, v57
	v_fmac_f16_e32 v53, 0x34f2, v56
	v_add_f16_e32 v56, v47, v50
	v_fmac_f16_e32 v59, 0x38b4, v62
	v_fmac_f16_e32 v48, 0x3b9c, v51
	v_fma_f16 v51, v61, 0x3b9c, -v60
	v_sub_f16_e32 v47, v50, v47
	v_mul_f16_e32 v50, 0x3a79, v68
	v_add_f16_e32 v60, v49, v59
	v_add_f16_e32 v61, v55, v48
	;; [unrolled: 1-line block ×3, first 2 shown]
	v_sub_f16_e32 v49, v49, v59
	v_fma_f16 v50, v53, 0x38b4, -v50
	v_mul_u32_u24_e32 v59, 10, v0
	v_sub_f16_e32 v48, v55, v48
	v_pack_b32_f16 v55, v61, v63
	v_pack_b32_f16 v56, v56, v60
	v_add_f16_e32 v60, v44, v50
	v_lshl_add_u32 v67, v59, 1, 0
	v_pack_b32_f16 v48, v49, v48
	v_add_f16_e32 v49, v16, v14
	v_sub_f16_e32 v59, v18, v16
	v_pack_b32_f16 v47, v60, v47
	ds_write2_b32 v67, v56, v55 offset1:1
	v_add_f16_e32 v55, v18, v17
	v_sub_f16_e32 v56, v17, v14
	v_add_f16_e32 v60, v17, v27
	v_fma_f16 v49, -0.5, v49, v27
	ds_write2_b32 v67, v47, v48 offset0:2 offset1:3
	v_fmac_f16_e32 v27, -0.5, v55
	v_sub_f16_e32 v55, v24, v23
	v_add_f16_e32 v47, v59, v56
	v_sub_f16_e32 v48, v14, v17
	v_sub_f16_e32 v56, v16, v18
	v_pk_add_f16 v63, v20, v45
	s_waitcnt vmcnt(1)
	v_pk_add_f16 v64, v26, v21 neg_lo:[0,1] neg_hi:[0,1]
	v_fmamk_f16 v59, v55, 0xbb9c, v27
	v_sub_f16_e32 v61, v25, v22
	v_add_f16_e32 v48, v56, v48
	v_fmac_f16_e32 v27, 0x3b9c, v55
	v_pk_fma_f16 v56, v63, 0.5, v46 op_sel_hi:[1,0,1] neg_lo:[1,0,0] neg_hi:[1,0,0]
	v_pk_mul_f16 v63, 0x3b9c, v64 op_sel_hi:[0,1]
	v_pk_add_f16 v65, v45, v20 neg_lo:[0,1] neg_hi:[0,1]
	v_fmac_f16_e32 v59, 0x38b4, v61
	v_fmac_f16_e32 v27, 0xb8b4, v61
	v_pk_add_f16 v66, v26, v45 neg_lo:[0,1] neg_hi:[0,1]
	v_pk_add_f16 v69, v21, v20 neg_lo:[0,1] neg_hi:[0,1]
	v_pk_add_f16 v70, v63, v56 op_sel:[1,0] op_sel_hi:[0,1]
	v_pk_mul_f16 v71, 0x38b4, v65 op_sel_hi:[0,1]
	v_pk_add_f16 v56, v56, v63 op_sel:[0,1] op_sel_hi:[1,0] neg_lo:[0,1] neg_hi:[0,1]
	v_fmac_f16_e32 v59, 0x34f2, v48
	v_fmac_f16_e32 v27, 0x34f2, v48
	v_pk_add_f16 v48, v69, v66
	v_pk_add_f16 v63, v70, v71 op_sel:[0,1] op_sel_hi:[1,0] neg_lo:[0,1] neg_hi:[0,1]
	v_pk_add_f16 v56, v71, v56 op_sel:[1,0] op_sel_hi:[0,1]
	v_pk_add_f16 v66, v45, v26 neg_lo:[0,1] neg_hi:[0,1]
	v_pk_add_f16 v71, v20, v21 neg_lo:[0,1] neg_hi:[0,1]
	v_lshrrev_b32_e32 v73, 16, v46
	v_add_f16_sdwa v72, v21, v26 dst_sel:DWORD dst_unused:UNUSED_PAD src0_sel:WORD_1 src1_sel:WORD_1
	v_pk_fma_f16 v70, 0x34f2, v48, v56 op_sel_hi:[0,1,1]
	v_pk_fma_f16 v69, 0x34f2, v48, v63 op_sel_hi:[0,1,1]
	v_pk_add_f16 v48, v71, v66
	v_add_f16_sdwa v74, v45, v73 dst_sel:DWORD dst_unused:UNUSED_PAD src0_sel:WORD_1 src1_sel:DWORD
	v_fmac_f16_e32 v73, -0.5, v72
	v_mul_f16_e32 v56, 0x34f2, v70
	v_lshrrev_b32_e32 v63, 16, v69
	v_mul_f16_e32 v66, 0x34f2, v69
	v_lshrrev_b32_e32 v71, 16, v70
	v_add_f16_e32 v72, v21, v26
	v_sub_f16_sdwa v75, v45, v26 dst_sel:DWORD dst_unused:UNUSED_PAD src0_sel:WORD_1 src1_sel:WORD_1
	v_sub_f16_sdwa v76, v20, v21 dst_sel:DWORD dst_unused:UNUSED_PAD src0_sel:WORD_1 src1_sel:WORD_1
	v_fmac_f16_e32 v56, 0x3b9c, v63
	v_fma_f16 v63, v71, 0x3b9c, -v66
	v_fma_f16 v66, -0.5, v72, v46
	v_bfi_b32 v48, 0xffff, v48, v64
	v_lshrrev_b32_e32 v71, 16, v65
	v_add_f16_e32 v45, v45, v46
	v_add_f16_e32 v46, v76, v75
	v_fmamk_f16 v78, v65, 0xbb9c, v73
	v_pk_mul_f16 v48, 0x38b434f2, v48
	v_fmamk_f16 v76, v71, 0x3b9c, v66
	v_fmac_f16_e32 v66, 0xbb9c, v71
	v_fmac_f16_e32 v73, 0x3b9c, v65
	v_add_f16_e32 v60, v14, v60
	v_fmamk_f16 v77, v61, 0x3b9c, v49
	v_add_f16_sdwa v76, v48, v76 dst_sel:DWORD dst_unused:UNUSED_PAD src0_sel:WORD_1 src1_sel:DWORD
	v_sub_f16_sdwa v65, v66, v48 dst_sel:DWORD dst_unused:UNUSED_PAD src0_sel:DWORD src1_sel:WORD_1
	v_add_f16_e32 v45, v26, v45
	v_fmac_f16_e32 v78, 0xb8b4, v64
	v_fmac_f16_e32 v49, 0xbb9c, v61
	v_add_f16_e32 v76, v48, v76
	v_fmac_f16_e32 v73, 0x38b4, v64
	v_add_f16_e32 v79, v48, v65
	v_add_f16_e32 v60, v16, v60
	v_fmac_f16_e32 v77, 0x38b4, v55
	v_add_f16_e32 v45, v21, v45
	v_fmac_f16_e32 v78, 0x34f2, v46
	v_mul_f16_e32 v48, 0x3a79, v76
	v_fmac_f16_e32 v49, 0xb8b4, v55
	v_fmac_f16_e32 v73, 0x34f2, v46
	v_mul_f16_e32 v46, 0x3a79, v79
	v_add_f16_e32 v60, v18, v60
	v_fmac_f16_e32 v77, 0x34f2, v47
	v_add_f16_e32 v45, v20, v45
	v_fmac_f16_e32 v48, 0x38b4, v78
	v_fmac_f16_e32 v49, 0x34f2, v47
	v_fma_f16 v46, v73, 0x38b4, -v46
	v_add_f16_e32 v72, v59, v56
	v_add_f16_e32 v61, v45, v60
	;; [unrolled: 1-line block ×3, first 2 shown]
	v_sub_f16_e32 v48, v77, v48
	v_sub_f16_e32 v56, v59, v56
	;; [unrolled: 1-line block ×3, first 2 shown]
	v_add_f16_e32 v59, v49, v46
	v_pack_b32_f16 v47, v61, v47
	v_sub_f16_e32 v60, v8, v5
	v_pack_b32_f16 v48, v48, v56
	v_add_f16_e32 v56, v6, v5
	v_pack_b32_f16 v45, v59, v45
	v_add_f16_e32 v59, v9, v8
	v_sub_f16_e32 v61, v9, v6
	v_add_f16_e32 v75, v27, v63
	v_fma_f16 v56, -0.5, v56, v29
	v_add_f16_e32 v64, v8, v29
	v_fmac_f16_e32 v29, -0.5, v59
	v_sub_f16_e32 v59, v12, v10
	v_add_f16_e32 v60, v61, v60
	v_sub_f16_e32 v61, v5, v8
	v_sub_f16_e32 v65, v6, v9
	v_pk_add_f16 v77, v11, v43
	s_waitcnt vmcnt(0)
	v_pk_add_f16 v80, v19, v15 neg_lo:[0,1] neg_hi:[0,1]
	v_pack_b32_f16 v55, v72, v75
	v_fmamk_f16 v66, v59, 0xbb9c, v29
	v_sub_f16_e32 v75, v13, v7
	v_add_f16_e32 v61, v65, v61
	v_fmac_f16_e32 v29, 0x3b9c, v59
	v_pk_fma_f16 v65, v77, 0.5, v42 op_sel_hi:[1,0,1] neg_lo:[1,0,0] neg_hi:[1,0,0]
	v_pk_mul_f16 v77, 0x3b9c, v80 op_sel_hi:[0,1]
	v_pk_add_f16 v81, v43, v11 neg_lo:[0,1] neg_hi:[0,1]
	v_fmac_f16_e32 v66, 0x38b4, v75
	v_fmac_f16_e32 v29, 0xb8b4, v75
	v_pk_add_f16 v82, v19, v43 neg_lo:[0,1] neg_hi:[0,1]
	v_pk_add_f16 v83, v15, v11 neg_lo:[0,1] neg_hi:[0,1]
	v_pk_add_f16 v84, v77, v65 op_sel:[1,0] op_sel_hi:[0,1]
	v_pk_mul_f16 v85, 0x38b4, v81 op_sel_hi:[0,1]
	v_pk_add_f16 v65, v65, v77 op_sel:[0,1] op_sel_hi:[1,0] neg_lo:[0,1] neg_hi:[0,1]
	v_fmac_f16_e32 v66, 0x34f2, v61
	v_fmac_f16_e32 v29, 0x34f2, v61
	v_pk_add_f16 v61, v83, v82
	v_pk_add_f16 v77, v84, v85 op_sel:[0,1] op_sel_hi:[1,0] neg_lo:[0,1] neg_hi:[0,1]
	v_pk_add_f16 v65, v85, v65 op_sel:[1,0] op_sel_hi:[0,1]
	v_pk_add_f16 v82, v43, v19 neg_lo:[0,1] neg_hi:[0,1]
	v_pk_add_f16 v83, v11, v15 neg_lo:[0,1] neg_hi:[0,1]
	v_lshrrev_b32_e32 v84, 16, v42
	v_add_f16_sdwa v85, v15, v19 dst_sel:DWORD dst_unused:UNUSED_PAD src0_sel:WORD_1 src1_sel:WORD_1
	v_pk_fma_f16 v86, 0x34f2, v61, v65 op_sel_hi:[0,1,1]
	v_pk_fma_f16 v77, 0x34f2, v61, v77 op_sel_hi:[0,1,1]
	v_pk_add_f16 v61, v83, v82
	v_add_f16_sdwa v82, v43, v84 dst_sel:DWORD dst_unused:UNUSED_PAD src0_sel:WORD_1 src1_sel:DWORD
	v_fmac_f16_e32 v84, -0.5, v85
	v_mul_f16_e32 v65, 0x34f2, v86
	v_lshrrev_b32_e32 v83, 16, v77
	v_mul_f16_e32 v85, 0x34f2, v77
	v_lshrrev_b32_e32 v87, 16, v86
	v_add_f16_e32 v88, v15, v19
	v_sub_f16_sdwa v89, v43, v19 dst_sel:DWORD dst_unused:UNUSED_PAD src0_sel:WORD_1 src1_sel:WORD_1
	v_sub_f16_sdwa v90, v11, v15 dst_sel:DWORD dst_unused:UNUSED_PAD src0_sel:WORD_1 src1_sel:WORD_1
	v_fmac_f16_e32 v65, 0x3b9c, v83
	v_fma_f16 v83, v87, 0x3b9c, -v85
	v_fma_f16 v85, -0.5, v88, v42
	v_bfi_b32 v61, 0xffff, v61, v80
	v_lshrrev_b32_e32 v87, 16, v81
	v_add_f16_e32 v42, v43, v42
	v_add_f16_e32 v43, v90, v89
	v_fmamk_f16 v92, v81, 0xbb9c, v84
	v_pk_mul_f16 v61, 0x38b434f2, v61
	v_fmamk_f16 v90, v87, 0x3b9c, v85
	v_fmac_f16_e32 v85, 0xbb9c, v87
	v_fmac_f16_e32 v84, 0x3b9c, v81
	v_add_f16_e32 v64, v5, v64
	v_fmamk_f16 v91, v75, 0x3b9c, v56
	v_add_f16_sdwa v90, v61, v90 dst_sel:DWORD dst_unused:UNUSED_PAD src0_sel:WORD_1 src1_sel:DWORD
	v_sub_f16_sdwa v81, v85, v61 dst_sel:DWORD dst_unused:UNUSED_PAD src0_sel:DWORD src1_sel:WORD_1
	v_add_f16_e32 v42, v19, v42
	v_fmac_f16_e32 v92, 0xb8b4, v80
	v_fmac_f16_e32 v56, 0xbb9c, v75
	v_add_f16_e32 v87, v61, v90
	v_fmac_f16_e32 v84, 0x38b4, v80
	v_add_f16_e32 v75, v61, v81
	v_add_f16_e32 v64, v6, v64
	v_fmac_f16_e32 v91, 0x38b4, v59
	v_add_f16_e32 v42, v15, v42
	v_fmac_f16_e32 v92, 0x34f2, v43
	v_mul_f16_e32 v61, 0x3a79, v87
	v_fmac_f16_e32 v56, 0xb8b4, v59
	v_fmac_f16_e32 v84, 0x34f2, v43
	v_mul_f16_e32 v43, 0x3a79, v75
	v_add_f16_e32 v64, v9, v64
	v_fmac_f16_e32 v91, 0x34f2, v60
	v_add_f16_e32 v42, v11, v42
	v_fmac_f16_e32 v61, 0x38b4, v92
	v_fmac_f16_e32 v56, 0x34f2, v60
	v_fma_f16 v43, v84, 0x38b4, -v43
	v_add_f16_e32 v88, v66, v65
	v_add_f16_e32 v89, v29, v83
	;; [unrolled: 1-line block ×4, first 2 shown]
	v_sub_f16_e32 v61, v91, v61
	v_sub_f16_e32 v65, v66, v65
	;; [unrolled: 1-line block ×3, first 2 shown]
	v_add_f16_e32 v64, v56, v43
	v_add_nc_u32_e32 v71, 0x654, v67
	v_add_nc_u32_e32 v72, 0x65c, v67
	v_add_f16_e32 v66, v40, v34
	v_pack_b32_f16 v59, v88, v89
	v_pack_b32_f16 v60, v80, v60
	v_add_nc_u32_e32 v80, 0xca8, v67
	v_pack_b32_f16 v61, v61, v65
	v_pack_b32_f16 v42, v64, v42
	v_add_nc_u32_e32 v81, 0xcb0, v67
	ds_write2_b32 v71, v47, v55 offset1:1
	v_add_f16_e32 v47, v39, v66
	ds_write2_b32 v72, v45, v48 offset1:1
	ds_write2_b32 v80, v60, v59 offset1:1
	;; [unrolled: 1-line block ×3, first 2 shown]
	v_add_f16_e32 v42, v38, v39
	v_add_f16_e32 v45, v37, v40
	v_sub_f16_e32 v32, v33, v32
	v_add_f16_e32 v33, v38, v47
	v_sub_f16_e32 v30, v30, v31
	v_fma_f16 v85, -0.5, v42, v34
	v_fmac_f16_e32 v34, -0.5, v45
	v_add_f16_sdwa v31, v41, v54 dst_sel:DWORD dst_unused:UNUSED_PAD src0_sel:WORD_1 src1_sel:DWORD
	v_add_f16_e32 v33, v37, v33
	v_sub_f16_e32 v41, v40, v39
	v_sub_f16_e32 v39, v39, v40
	;; [unrolled: 1-line block ×4, first 2 shown]
	v_fmamk_f16 v38, v30, 0x3b9c, v34
	v_fmac_f16_e32 v34, 0xbb9c, v30
	v_add_f16_sdwa v31, v36, v31 dst_sel:DWORD dst_unused:UNUSED_PAD src0_sel:WORD_1 src1_sel:DWORD
	v_add_f16_e32 v36, v40, v41
	v_add_f16_e32 v37, v37, v39
	v_fmac_f16_e32 v38, 0xb8b4, v32
	v_fmac_f16_e32 v34, 0x38b4, v32
	v_mul_f16_e32 v88, 0xb8b4, v52
	v_add_f16_sdwa v31, v35, v31 dst_sel:DWORD dst_unused:UNUSED_PAD src0_sel:WORD_1 src1_sel:DWORD
	v_mul_f16_e32 v37, 0x34f2, v37
	v_sub_f16_e32 v35, v44, v50
	v_pack_b32_f16 v34, v34, v38
	v_fmamk_f16 v38, v32, 0xbb9c, v85
	v_sub_f16_e32 v28, v28, v51
	v_fmac_f16_e32 v85, 0x3b9c, v32
	v_sub_f16_e32 v39, v49, v46
	v_pk_add_f16 v34, v37, v34 op_sel_hi:[0,1]
	v_fmac_f16_e32 v38, 0xb8b4, v30
	v_pk_mul_f16 v37, 0x34f23b9c, v57
	v_sub_f16_e32 v27, v27, v63
	v_sub_f16_e32 v40, v56, v43
	v_sub_f16_e32 v29, v29, v83
	v_fmac_f16_e32 v88, 0x3a79, v62
	v_pack_b32_f16 v28, v28, v35
	v_fmac_f16_e32 v38, 0x34f2, v36
	v_pk_fma_f16 v35, 0x34f2bb9c, v58, v37 op_sel:[0,0,1] op_sel_hi:[1,1,0] neg_lo:[0,0,1] neg_hi:[0,0,1]
	v_fmac_f16_e32 v85, 0x38b4, v30
	v_pack_b32_f16 v27, v27, v39
	v_pack_b32_f16 v29, v29, v40
	v_add_f16_e32 v37, v31, v33
	v_add_f16_e32 v39, v38, v88
	ds_write_b32 v67, v28 offset:16
	ds_write_b32 v67, v27 offset:1636
	;; [unrolled: 1-line block ×3, first 2 shown]
	v_pk_add_f16 v27, v34, v35
	v_fmac_f16_e32 v85, 0x34f2, v36
	v_add_f16_e32 v36, v23, v24
	v_pack_b32_f16 v37, v37, v39
	v_mad_i32_i24 v29, 0xffffffee, v0, v67
	v_alignbit_b32 v83, v27, v27, 16
	v_mul_f16_e32 v30, 0x3a79, v53
	v_sub_f16_e32 v31, v33, v31
	v_add_f16_e32 v33, v25, v4
	v_sub_f16_e32 v17, v17, v18
	v_sub_f16_e32 v14, v14, v16
	v_fma_f16 v16, -0.5, v36, v4
	s_waitcnt lgkmcnt(0)
	s_barrier
	buffer_gl0_inv
	ds_read_u16 v56, v29 offset:3564
	ds_read_u16 v54, v29 offset:3726
	;; [unrolled: 1-line block ×6, first 2 shown]
	ds_read_u16 v47, v29
	ds_read_u16 v46, v29 offset:162
	ds_read_u16 v45, v29 offset:324
	;; [unrolled: 1-line block ×23, first 2 shown]
	s_waitcnt lgkmcnt(0)
	v_fma_f16 v30, v68, 0xb8b4, -v30
	s_barrier
	buffer_gl0_inv
	ds_write2_b32 v67, v37, v83 offset1:1
	v_sub_f16_e32 v18, v25, v24
	v_sub_f16_e32 v37, v22, v23
	v_add_f16_e32 v33, v24, v33
	v_add_f16_e32 v68, v22, v25
	v_sub_f16_e32 v24, v24, v25
	v_fmamk_f16 v25, v17, 0xbb9c, v16
	v_fmac_f16_e32 v16, 0x3b9c, v17
	v_add_f16_e32 v18, v37, v18
	v_add_f16_e32 v33, v23, v33
	v_fmac_f16_e32 v4, -0.5, v68
	v_fmac_f16_e32 v25, 0xb8b4, v14
	v_fmac_f16_e32 v16, 0x38b4, v14
	v_sub_f16_e32 v8, v8, v9
	v_add_f16_e32 v33, v22, v33
	v_sub_f16_e32 v22, v23, v22
	v_add_f16_sdwa v23, v26, v74 dst_sel:DWORD dst_unused:UNUSED_PAD src0_sel:WORD_1 src1_sel:DWORD
	v_fmac_f16_e32 v25, 0x34f2, v18
	v_fmac_f16_e32 v16, 0x34f2, v18
	v_mul_f16_e32 v18, 0x3a79, v73
	v_fmamk_f16 v26, v14, 0x3b9c, v4
	v_fmac_f16_e32 v4, 0xbb9c, v14
	v_add_f16_sdwa v14, v21, v23 dst_sel:DWORD dst_unused:UNUSED_PAD src0_sel:WORD_1 src1_sel:DWORD
	v_add_f16_e32 v23, v10, v12
	v_fma_f16 v18, v79, 0xb8b4, -v18
	v_sub_f16_e32 v5, v5, v6
	v_add_f16_e32 v21, v22, v24
	v_add_f16_sdwa v14, v20, v14 dst_sel:DWORD dst_unused:UNUSED_PAD src0_sel:WORD_1 src1_sel:DWORD
	v_fma_f16 v6, -0.5, v23, v1
	v_add_f16_e32 v20, v16, v18
	v_sub_f16_e32 v16, v16, v18
	v_add_f16_e32 v18, v13, v1
	v_fmac_f16_e32 v26, 0xb8b4, v17
	v_fmac_f16_e32 v4, 0x38b4, v17
	v_add_f16_e32 v17, v14, v33
	v_sub_f16_e32 v14, v33, v14
	v_add_f16_e32 v18, v12, v18
	v_sub_f16_e32 v9, v13, v12
	v_sub_f16_e32 v24, v7, v10
	v_add_f16_e32 v33, v7, v13
	v_sub_f16_e32 v12, v12, v13
	v_add_f16_e32 v18, v10, v18
	v_fmamk_f16 v13, v8, 0xbb9c, v6
	v_fmac_f16_e32 v6, 0x3b9c, v8
	v_add_f16_e32 v9, v24, v9
	v_fmac_f16_e32 v1, -0.5, v33
	v_add_f16_e32 v18, v7, v18
	v_sub_f16_e32 v7, v10, v7
	v_add_f16_sdwa v10, v19, v82 dst_sel:DWORD dst_unused:UNUSED_PAD src0_sel:WORD_1 src1_sel:DWORD
	v_fmac_f16_e32 v13, 0xb8b4, v5
	v_fmac_f16_e32 v6, 0x38b4, v5
	v_fmamk_f16 v19, v5, 0x3b9c, v1
	v_fmac_f16_e32 v1, 0xbb9c, v5
	v_add_f16_sdwa v5, v15, v10 dst_sel:DWORD dst_unused:UNUSED_PAD src0_sel:WORD_1 src1_sel:DWORD
	v_fmac_f16_e32 v13, 0x34f2, v9
	v_fmac_f16_e32 v6, 0x34f2, v9
	v_mul_f16_e32 v9, 0x3a79, v84
	v_mul_f16_e32 v22, 0xb8b4, v76
	v_add_f16_e32 v7, v7, v12
	v_add_f16_sdwa v5, v11, v5 dst_sel:DWORD dst_unused:UNUSED_PAD src0_sel:WORD_1 src1_sel:DWORD
	v_pack_b32_f16 v4, v4, v26
	v_fma_f16 v9, v75, 0xb8b4, -v9
	v_mul_f16_e32 v12, 0x34f2, v21
	v_pk_mul_f16 v15, 0x34f23b9c, v70
	v_fmac_f16_e32 v19, 0xb8b4, v8
	v_fmac_f16_e32 v1, 0x38b4, v8
	;; [unrolled: 1-line block ×3, first 2 shown]
	v_add_f16_e32 v8, v5, v18
	v_sub_f16_e32 v5, v18, v5
	v_add_f16_e32 v11, v6, v9
	v_bfi_b32 v18, 0xffff, v38, v34
	v_bfi_b32 v21, 0xffff, v88, v35
	v_sub_f16_e32 v6, v6, v9
	v_pk_add_f16 v4, v12, v4 op_sel_hi:[0,1]
	v_pk_fma_f16 v9, 0x34f2bb9c, v69, v15 op_sel:[0,0,1] op_sel_hi:[1,1,0] neg_lo:[0,0,1] neg_hi:[0,0,1]
	v_mul_f16_e32 v10, 0xb8b4, v87
	v_pack_b32_f16 v1, v1, v19
	v_mul_f16_e32 v7, 0x34f2, v7
	v_pk_mul_f16 v19, 0x34f23b9c, v86
	v_add_f16_e32 v32, v85, v30
	v_pk_add_f16 v18, v18, v21 neg_lo:[0,1] neg_hi:[0,1]
	v_add_f16_e32 v21, v25, v22
	v_bfi_b32 v15, 0xffff, v25, v4
	v_bfi_b32 v22, 0xffff, v22, v9
	v_sub_f16_e32 v30, v85, v30
	v_sub_f16_e32 v12, v34, v35
	v_pk_add_f16 v23, v4, v9
	v_fmac_f16_e32 v10, 0x3a79, v92
	v_pk_add_f16 v1, v7, v1 op_sel_hi:[0,1]
	v_pk_fma_f16 v7, 0x34f2bb9c, v77, v19 op_sel:[0,0,1] op_sel_hi:[1,1,0] neg_lo:[0,0,1] neg_hi:[0,0,1]
	v_sub_f16_e32 v4, v4, v9
	v_pk_add_f16 v9, v15, v22 neg_lo:[0,1] neg_hi:[0,1]
	v_pack_b32_f16 v22, v32, v31
	v_pack_b32_f16 v14, v20, v14
	;; [unrolled: 1-line block ×3, first 2 shown]
	v_alignbit_b32 v23, v23, v23, 16
	v_pack_b32_f16 v17, v17, v21
	v_add_f16_e32 v19, v13, v10
	v_pk_add_f16 v24, v1, v7
	v_add_nc_u32_e32 v38, 0x51, v0
	v_sub_f16_e32 v21, v1, v7
	v_bfi_b32 v1, 0xffff, v13, v1
	v_bfi_b32 v7, 0xffff, v10, v7
	v_and_b32_e32 v15, 0xff, v0
	ds_write2_b32 v67, v22, v18 offset0:2 offset1:3
	ds_write_b32 v67, v12 offset:16
	ds_write2_b32 v71, v17, v23 offset1:1
	ds_write2_b32 v72, v14, v9 offset1:1
	v_add_nc_u32_e32 v37, 0xa2, v0
	v_mov_b32_e32 v72, 0xcccd
	v_add_nc_u32_e32 v30, 0x1e6, v0
	v_pack_b32_f16 v4, v4, v16
	v_alignbit_b32 v10, v24, v24, 16
	v_pack_b32_f16 v8, v8, v19
	v_and_b32_e32 v16, 0xff, v38
	v_pk_add_f16 v1, v1, v7 neg_lo:[0,1] neg_hi:[0,1]
	v_pack_b32_f16 v5, v11, v5
	v_mul_lo_u16 v20, 0xcd, v15
	v_and_b32_e32 v14, 0xff, v37
	v_add_nc_u32_e32 v34, 0x144, v0
	v_mul_u32_u24_sdwa v31, v30, v72 dst_sel:DWORD dst_unused:UNUSED_PAD src0_sel:WORD_0 src1_sel:DWORD
	v_add_nc_u32_e32 v35, 0x237, v0
	ds_write_b32 v67, v4 offset:1636
	ds_write2_b32 v80, v8, v10 offset1:1
	ds_write2_b32 v81, v5, v1 offset1:1
	v_mul_lo_u16 v1, 0xcd, v16
	v_add_nc_u32_e32 v33, 0x195, v0
	v_lshrrev_b16 v17, 11, v20
	v_mul_lo_u16 v5, 0xcd, v14
	v_mul_u32_u24_sdwa v10, v34, v72 dst_sel:DWORD dst_unused:UNUSED_PAD src0_sel:WORD_0 src1_sel:DWORD
	v_lshrrev_b32_e32 v68, 19, v31
	v_mul_u32_u24_sdwa v31, v35, v72 dst_sel:DWORD dst_unused:UNUSED_PAD src0_sel:WORD_0 src1_sel:DWORD
	v_lshrrev_b16 v19, 11, v1
	v_add_nc_u32_e32 v1, 0xf3, v0
	v_mul_u32_u24_sdwa v12, v33, v72 dst_sel:DWORD dst_unused:UNUSED_PAD src0_sel:WORD_0 src1_sel:DWORD
	v_mul_lo_u16 v9, v17, 10
	v_pack_b32_f16 v6, v21, v6
	v_lshrrev_b16 v20, 11, v5
	v_lshrrev_b32_e32 v23, 19, v10
	v_lshrrev_b32_e32 v70, 19, v31
	v_mul_u32_u24_sdwa v7, v1, v72 dst_sel:DWORD dst_unused:UNUSED_PAD src0_sel:WORD_0 src1_sel:DWORD
	v_lshrrev_b32_e32 v26, 19, v12
	v_sub_nc_u16 v18, v0, v9
	v_mov_b32_e32 v36, 3
	ds_write_b32 v67, v6 offset:3256
	v_mul_lo_u16 v6, v19, 10
	v_mul_lo_u16 v8, v20, 10
	;; [unrolled: 1-line block ×4, first 2 shown]
	v_lshrrev_b32_e32 v21, 19, v7
	v_mul_lo_u16 v32, v26, 10
	v_lshlrev_b32_sdwa v4, v36, v18 dst_sel:DWORD dst_unused:UNUSED_PAD src0_sel:DWORD src1_sel:BYTE_0
	v_sub_nc_u16 v22, v38, v6
	v_sub_nc_u16 v24, v37, v8
	;; [unrolled: 1-line block ×4, first 2 shown]
	v_mul_lo_u16 v7, v21, 10
	v_sub_nc_u16 v69, v33, v32
	s_waitcnt lgkmcnt(0)
	s_barrier
	buffer_gl0_inv
	global_load_dwordx2 v[4:5], v4, s[8:9]
	v_lshlrev_b32_sdwa v6, v36, v22 dst_sel:DWORD dst_unused:UNUSED_PAD src0_sel:DWORD src1_sel:BYTE_0
	v_lshlrev_b32_sdwa v11, v36, v24 dst_sel:DWORD dst_unused:UNUSED_PAD src0_sel:DWORD src1_sel:BYTE_0
	v_lshlrev_b32_sdwa v12, v36, v67 dst_sel:DWORD dst_unused:UNUSED_PAD src0_sel:DWORD src1_sel:WORD_0
	v_lshlrev_b32_sdwa v77, v36, v76 dst_sel:DWORD dst_unused:UNUSED_PAD src0_sel:DWORD src1_sel:WORD_0
	v_sub_nc_u16 v25, v1, v7
	global_load_dwordx2 v[8:9], v6, s[8:9]
	v_lshlrev_b32_sdwa v73, v36, v69 dst_sel:DWORD dst_unused:UNUSED_PAD src0_sel:DWORD src1_sel:WORD_0
	s_clause 0x2
	global_load_dwordx2 v[12:13], v12, s[8:9]
	global_load_dwordx2 v[82:83], v77, s[8:9]
	;; [unrolled: 1-line block ×3, first 2 shown]
	v_add_nc_u32_e32 v32, 0x288, v0
	global_load_dwordx2 v[78:79], v73, s[8:9]
	v_lshlrev_b32_sdwa v11, v36, v25 dst_sel:DWORD dst_unused:UNUSED_PAD src0_sel:DWORD src1_sel:WORD_0
	v_mul_lo_u16 v71, v68, 10
	v_add_nc_u32_e32 v31, 0x2d9, v0
	v_mul_u32_u24_sdwa v73, v32, v72 dst_sel:DWORD dst_unused:UNUSED_PAD src0_sel:WORD_0 src1_sel:DWORD
	v_mov_b32_e32 v114, 60
	global_load_dwordx2 v[10:11], v11, s[8:9]
	v_sub_nc_u16 v71, v30, v71
	v_mul_u32_u24_sdwa v72, v31, v72 dst_sel:DWORD dst_unused:UNUSED_PAD src0_sel:WORD_0 src1_sel:DWORD
	v_lshrrev_b32_e32 v73, 19, v73
	v_mul_u32_u24_sdwa v17, v17, v114 dst_sel:DWORD dst_unused:UNUSED_PAD src0_sel:WORD_0 src1_sel:DWORD
	v_cmp_gt_u32_e64 s0, 9, v0
	v_lshlrev_b32_sdwa v75, v36, v71 dst_sel:DWORD dst_unused:UNUSED_PAD src0_sel:DWORD src1_sel:WORD_0
	v_lshrrev_b32_e32 v72, 19, v72
	v_mul_lo_u16 v74, v73, 10
	global_load_dwordx2 v[80:81], v75, s[8:9]
	v_sub_nc_u16 v75, v32, v74
	v_mul_lo_u16 v74, v72, 10
	v_lshlrev_b32_sdwa v77, v36, v75 dst_sel:DWORD dst_unused:UNUSED_PAD src0_sel:DWORD src1_sel:WORD_0
	v_sub_nc_u16 v74, v31, v74
	global_load_dwordx2 v[84:85], v77, s[8:9]
	v_lshlrev_b32_sdwa v77, v36, v74 dst_sel:DWORD dst_unused:UNUSED_PAD src0_sel:DWORD src1_sel:WORD_0
	global_load_dwordx2 v[86:87], v77, s[8:9]
	ds_read_u16 v88, v29 offset:1620
	ds_read_u16 v89, v29 offset:3240
	;; [unrolled: 1-line block ×12, first 2 shown]
	s_waitcnt vmcnt(9) lgkmcnt(11)
	v_mul_f16_sdwa v96, v88, v4 dst_sel:DWORD dst_unused:UNUSED_PAD src0_sel:DWORD src1_sel:WORD_1
	v_mul_f16_sdwa v97, v65, v4 dst_sel:DWORD dst_unused:UNUSED_PAD src0_sel:DWORD src1_sel:WORD_1
	s_waitcnt lgkmcnt(10)
	v_mul_f16_sdwa v101, v89, v5 dst_sel:DWORD dst_unused:UNUSED_PAD src0_sel:DWORD src1_sel:WORD_1
	v_mul_f16_sdwa v102, v66, v5 dst_sel:DWORD dst_unused:UNUSED_PAD src0_sel:DWORD src1_sel:WORD_1
	v_fma_f16 v65, v65, v4, -v96
	v_fmac_f16_e32 v97, v88, v4
	v_fma_f16 v4, v66, v5, -v101
	v_fmac_f16_e32 v102, v89, v5
	s_waitcnt vmcnt(8) lgkmcnt(9)
	v_mul_f16_sdwa v5, v90, v8 dst_sel:DWORD dst_unused:UNUSED_PAD src0_sel:DWORD src1_sel:WORD_1
	v_mul_f16_sdwa v66, v63, v8 dst_sel:DWORD dst_unused:UNUSED_PAD src0_sel:DWORD src1_sel:WORD_1
	s_waitcnt lgkmcnt(8)
	v_mul_f16_sdwa v88, v91, v9 dst_sel:DWORD dst_unused:UNUSED_PAD src0_sel:DWORD src1_sel:WORD_1
	v_mul_f16_sdwa v89, v64, v9 dst_sel:DWORD dst_unused:UNUSED_PAD src0_sel:DWORD src1_sel:WORD_1
	s_waitcnt vmcnt(5) lgkmcnt(7)
	v_mul_f16_sdwa v96, v92, v6 dst_sel:DWORD dst_unused:UNUSED_PAD src0_sel:DWORD src1_sel:WORD_1
	v_fma_f16 v5, v63, v8, -v5
	v_fmac_f16_e32 v66, v90, v8
	v_fma_f16 v8, v64, v9, -v88
	v_fmac_f16_e32 v89, v91, v9
	v_fma_f16 v9, v60, v6, -v96
	v_mul_f16_sdwa v60, v60, v6 dst_sel:DWORD dst_unused:UNUSED_PAD src0_sel:DWORD src1_sel:WORD_1
	s_waitcnt lgkmcnt(2)
	v_mul_f16_sdwa v63, v98, v7 dst_sel:DWORD dst_unused:UNUSED_PAD src0_sel:DWORD src1_sel:WORD_1
	ds_read_u16 v88, v29 offset:3888
	v_mul_f16_sdwa v64, v56, v7 dst_sel:DWORD dst_unused:UNUSED_PAD src0_sel:DWORD src1_sel:WORD_1
	s_waitcnt vmcnt(3)
	v_mul_f16_sdwa v90, v93, v10 dst_sel:DWORD dst_unused:UNUSED_PAD src0_sel:DWORD src1_sel:WORD_1
	v_mul_f16_sdwa v91, v57, v10 dst_sel:DWORD dst_unused:UNUSED_PAD src0_sel:DWORD src1_sel:WORD_1
	v_fmac_f16_e32 v60, v92, v6
	v_fma_f16 v6, v56, v7, -v63
	ds_read_u16 v63, v29 offset:4050
	v_fmac_f16_e32 v64, v98, v7
	v_fma_f16 v7, v57, v10, -v90
	v_fmac_f16_e32 v91, v93, v10
	s_waitcnt lgkmcnt(3)
	v_mul_f16_sdwa v10, v99, v11 dst_sel:DWORD dst_unused:UNUSED_PAD src0_sel:DWORD src1_sel:WORD_1
	v_mul_f16_sdwa v56, v54, v11 dst_sel:DWORD dst_unused:UNUSED_PAD src0_sel:DWORD src1_sel:WORD_1
	ds_read_u16 v92, v29 offset:2592
	v_mul_f16_sdwa v57, v94, v12 dst_sel:DWORD dst_unused:UNUSED_PAD src0_sel:DWORD src1_sel:WORD_1
	v_mul_f16_sdwa v90, v52, v12 dst_sel:DWORD dst_unused:UNUSED_PAD src0_sel:DWORD src1_sel:WORD_1
	v_fma_f16 v10, v54, v11, -v10
	v_fmac_f16_e32 v56, v99, v11
	ds_read_u16 v11, v29 offset:4212
	ds_read_u16 v54, v29 offset:4374
	;; [unrolled: 1-line block ×4, first 2 shown]
	v_mul_f16_sdwa v99, v62, v13 dst_sel:DWORD dst_unused:UNUSED_PAD src0_sel:DWORD src1_sel:WORD_1
	ds_read_u16 v101, v29 offset:2754
	s_waitcnt lgkmcnt(7)
	v_mul_f16_sdwa v98, v88, v13 dst_sel:DWORD dst_unused:UNUSED_PAD src0_sel:DWORD src1_sel:WORD_1
	v_fma_f16 v57, v52, v12, -v57
	v_fmac_f16_e32 v90, v94, v12
	ds_read_u16 v12, v29 offset:2916
	v_mul_f16_sdwa v103, v95, v78 dst_sel:DWORD dst_unused:UNUSED_PAD src0_sel:DWORD src1_sel:WORD_1
	v_fma_f16 v62, v62, v13, -v98
	v_fmac_f16_e32 v99, v88, v13
	v_mul_f16_sdwa v94, v50, v78 dst_sel:DWORD dst_unused:UNUSED_PAD src0_sel:DWORD src1_sel:WORD_1
	s_waitcnt lgkmcnt(7)
	v_mul_f16_sdwa v13, v63, v79 dst_sel:DWORD dst_unused:UNUSED_PAD src0_sel:DWORD src1_sel:WORD_1
	v_fma_f16 v88, v50, v78, -v103
	v_mul_f16_sdwa v98, v61, v79 dst_sel:DWORD dst_unused:UNUSED_PAD src0_sel:DWORD src1_sel:WORD_1
	s_waitcnt vmcnt(2)
	v_mul_f16_sdwa v103, v51, v80 dst_sel:DWORD dst_unused:UNUSED_PAD src0_sel:DWORD src1_sel:WORD_1
	s_waitcnt lgkmcnt(6)
	v_mul_f16_sdwa v50, v92, v80 dst_sel:DWORD dst_unused:UNUSED_PAD src0_sel:DWORD src1_sel:WORD_1
	v_fmac_f16_e32 v94, v95, v78
	v_fma_f16 v61, v61, v79, -v13
	s_waitcnt lgkmcnt(5)
	v_mul_f16_sdwa v13, v11, v81 dst_sel:DWORD dst_unused:UNUSED_PAD src0_sel:DWORD src1_sel:WORD_1
	v_mul_f16_sdwa v78, v59, v81 dst_sel:DWORD dst_unused:UNUSED_PAD src0_sel:DWORD src1_sel:WORD_1
	v_fmac_f16_e32 v98, v63, v79
	v_fma_f16 v63, v51, v80, -v50
	v_fmac_f16_e32 v103, v92, v80
	s_waitcnt lgkmcnt(4)
	v_mul_f16_sdwa v51, v54, v83 dst_sel:DWORD dst_unused:UNUSED_PAD src0_sel:DWORD src1_sel:WORD_1
	v_fma_f16 v59, v59, v81, -v13
	v_fmac_f16_e32 v78, v11, v81
	v_mul_f16_sdwa v80, v58, v83 dst_sel:DWORD dst_unused:UNUSED_PAD src0_sel:DWORD src1_sel:WORD_1
	s_waitcnt vmcnt(1)
	v_mul_f16_sdwa v81, v39, v84 dst_sel:DWORD dst_unused:UNUSED_PAD src0_sel:DWORD src1_sel:WORD_1
	ds_read_u16 v95, v29
	s_waitcnt lgkmcnt(2)
	v_mul_f16_sdwa v50, v101, v82 dst_sel:DWORD dst_unused:UNUSED_PAD src0_sel:DWORD src1_sel:WORD_1
	v_mul_f16_sdwa v79, v48, v82 dst_sel:DWORD dst_unused:UNUSED_PAD src0_sel:DWORD src1_sel:WORD_1
	s_waitcnt lgkmcnt(1)
	v_mul_f16_sdwa v13, v12, v84 dst_sel:DWORD dst_unused:UNUSED_PAD src0_sel:DWORD src1_sel:WORD_1
	v_fma_f16 v58, v58, v83, -v51
	v_fmac_f16_e32 v80, v54, v83
	v_mul_f16_sdwa v83, v55, v85 dst_sel:DWORD dst_unused:UNUSED_PAD src0_sel:DWORD src1_sel:WORD_1
	v_fmac_f16_e32 v81, v12, v84
	s_waitcnt vmcnt(0)
	v_mul_f16_sdwa v12, v100, v86 dst_sel:DWORD dst_unused:UNUSED_PAD src0_sel:DWORD src1_sel:WORD_1
	v_fma_f16 v11, v48, v82, -v50
	v_fmac_f16_e32 v79, v101, v82
	v_mul_f16_sdwa v48, v93, v85 dst_sel:DWORD dst_unused:UNUSED_PAD src0_sel:DWORD src1_sel:WORD_1
	v_fma_f16 v82, v39, v84, -v13
	v_mul_f16_sdwa v92, v49, v86 dst_sel:DWORD dst_unused:UNUSED_PAD src0_sel:DWORD src1_sel:WORD_1
	v_fmac_f16_e32 v83, v93, v85
	v_mul_f16_sdwa v13, v96, v87 dst_sel:DWORD dst_unused:UNUSED_PAD src0_sel:DWORD src1_sel:WORD_1
	v_fma_f16 v93, v49, v86, -v12
	v_add_f16_e32 v12, v65, v4
	v_fmac_f16_e32 v92, v100, v86
	v_add_f16_e32 v39, v47, v65
	v_fma_f16 v86, v53, v87, -v13
	v_add_f16_e32 v13, v97, v102
	v_fmac_f16_e32 v47, -0.5, v12
	v_sub_f16_e32 v12, v97, v102
	v_fma_f16 v84, v55, v85, -v48
	s_waitcnt lgkmcnt(0)
	v_add_f16_e32 v48, v95, v97
	v_fmac_f16_e32 v95, -0.5, v13
	v_add_f16_e32 v13, v39, v4
	v_fmamk_f16 v49, v12, 0x3aee, v47
	v_fmac_f16_e32 v47, 0xbaee, v12
	v_add_f16_e32 v12, v5, v8
	v_add_f16_e32 v39, v9, v6
	v_sub_f16_e32 v4, v65, v4
	v_add_f16_e32 v65, v48, v102
	v_add_f16_e32 v48, v46, v5
	v_fmac_f16_e32 v46, -0.5, v12
	v_sub_f16_e32 v12, v66, v89
	v_add_f16_e32 v50, v45, v9
	v_fmac_f16_e32 v45, -0.5, v39
	v_sub_f16_e32 v39, v60, v64
	v_fmamk_f16 v97, v4, 0xbaee, v95
	v_fmac_f16_e32 v95, 0x3aee, v4
	v_fmamk_f16 v4, v12, 0x3aee, v46
	v_add_f16_e32 v51, v7, v10
	v_fmac_f16_e32 v46, 0xbaee, v12
	v_fmamk_f16 v12, v39, 0x3aee, v45
	v_add_f16_e32 v52, v57, v62
	v_fmac_f16_e32 v45, 0xbaee, v39
	v_add_f16_e32 v39, v88, v61
	v_add_f16_e32 v102, v63, v59
	v_mul_f16_sdwa v85, v53, v87 dst_sel:DWORD dst_unused:UNUSED_PAD src0_sel:DWORD src1_sel:WORD_1
	v_add_f16_e32 v53, v44, v7
	v_fmac_f16_e32 v44, -0.5, v51
	v_sub_f16_e32 v51, v91, v56
	v_add_f16_e32 v54, v43, v57
	v_fmac_f16_e32 v43, -0.5, v52
	v_sub_f16_e32 v52, v90, v99
	;; [unrolled: 3-line block ×3, first 2 shown]
	v_add_f16_e32 v108, v40, v63
	v_fmac_f16_e32 v40, -0.5, v102
	v_add_f16_e32 v102, v11, v58
	v_fmamk_f16 v55, v51, 0x3aee, v44
	v_fmac_f16_e32 v44, 0xbaee, v51
	v_fmamk_f16 v51, v52, 0x3aee, v43
	v_sub_f16_e32 v109, v103, v78
	v_fmac_f16_e32 v43, 0xbaee, v52
	v_fmamk_f16 v52, v39, 0x3aee, v42
	v_add_f16_e32 v110, v28, v11
	v_fmac_f16_e32 v28, -0.5, v102
	v_sub_f16_e32 v102, v79, v80
	v_fmac_f16_e32 v42, 0xbaee, v39
	v_add_f16_e32 v39, v82, v84
	v_fmac_f16_e32 v85, v96, v87
	v_fmamk_f16 v111, v109, 0x3aee, v40
	v_fmac_f16_e32 v40, 0xbaee, v109
	v_fmamk_f16 v109, v102, 0x3aee, v28
	v_fmac_f16_e32 v28, 0xbaee, v102
	v_add_f16_e32 v102, v27, v82
	v_fmac_f16_e32 v27, -0.5, v39
	v_add_f16_e32 v112, v93, v86
	v_mov_b32_e32 v39, 1
	v_sub_f16_e32 v113, v81, v83
	v_add_f16_e32 v115, v41, v93
	ds_read_u16 v87, v29 offset:162
	ds_read_u16 v96, v29 offset:324
	;; [unrolled: 1-line block ×7, first 2 shown]
	v_fmac_f16_e32 v41, -0.5, v112
	v_sub_f16_e32 v112, v92, v85
	v_lshlrev_b32_sdwa v18, v39, v18 dst_sel:DWORD dst_unused:UNUSED_PAD src0_sel:DWORD src1_sel:BYTE_0
	v_fmamk_f16 v116, v113, 0x3aee, v27
	v_fmac_f16_e32 v27, 0xbaee, v113
	ds_read_u16 v117, v29 offset:1296
	v_fmamk_f16 v113, v112, 0x3aee, v41
	v_fmac_f16_e32 v41, 0xbaee, v112
	v_add3_u32 v112, 0, v17, v18
	v_lshlrev_b32_sdwa v17, v39, v22 dst_sel:DWORD dst_unused:UNUSED_PAD src0_sel:DWORD src1_sel:BYTE_0
	v_mul_u32_u24_sdwa v18, v19, v114 dst_sel:DWORD dst_unused:UNUSED_PAD src0_sel:WORD_0 src1_sel:DWORD
	s_waitcnt lgkmcnt(0)
	s_barrier
	buffer_gl0_inv
	ds_write_b16 v112, v13
	ds_write_b16 v112, v49 offset:20
	v_add3_u32 v118, 0, v18, v17
	v_add_f16_e32 v13, v48, v8
	v_mul_u32_u24_sdwa v17, v20, v114 dst_sel:DWORD dst_unused:UNUSED_PAD src0_sel:WORD_0 src1_sel:DWORD
	v_lshlrev_b32_sdwa v18, v39, v24 dst_sel:DWORD dst_unused:UNUSED_PAD src0_sel:DWORD src1_sel:BYTE_0
	v_lshlrev_b32_sdwa v19, v39, v25 dst_sel:DWORD dst_unused:UNUSED_PAD src0_sel:DWORD src1_sel:WORD_0
	v_mul_u32_u24_e32 v20, 60, v21
	ds_write_b16 v112, v47 offset:40
	ds_write_b16 v118, v13
	v_add3_u32 v114, 0, v17, v18
	v_add_f16_e32 v13, v50, v6
	ds_write_b16 v118, v4 offset:20
	v_add3_u32 v4, 0, v20, v19
	v_add_f16_e32 v17, v53, v10
	ds_write_b16 v118, v46 offset:40
	ds_write_b16 v114, v13
	ds_write_b16 v114, v12 offset:20
	ds_write_b16 v114, v45 offset:40
	ds_write_b16 v4, v17
	v_lshlrev_b32_sdwa v12, v39, v67 dst_sel:DWORD dst_unused:UNUSED_PAD src0_sel:DWORD src1_sel:WORD_0
	v_mul_u32_u24_e32 v13, 60, v23
	v_lshlrev_b32_sdwa v17, v39, v69 dst_sel:DWORD dst_unused:UNUSED_PAD src0_sel:DWORD src1_sel:WORD_0
	v_mul_u32_u24_e32 v18, 60, v26
	ds_write_b16 v4, v55 offset:20
	ds_write_b16 v4, v44 offset:40
	v_mul_u32_u24_e32 v19, 60, v72
	v_add3_u32 v67, 0, v13, v12
	v_add_f16_e32 v12, v54, v62
	v_add3_u32 v69, 0, v18, v17
	v_lshlrev_b32_sdwa v17, v39, v71 dst_sel:DWORD dst_unused:UNUSED_PAD src0_sel:DWORD src1_sel:WORD_0
	v_mul_u32_u24_e32 v18, 60, v68
	v_add_f16_e32 v13, v107, v61
	ds_write_b16 v67, v12
	ds_write_b16 v67, v51 offset:20
	ds_write_b16 v67, v43 offset:40
	ds_write_b16 v69, v13
	v_lshlrev_b32_sdwa v13, v39, v76 dst_sel:DWORD dst_unused:UNUSED_PAD src0_sel:DWORD src1_sel:WORD_0
	v_add3_u32 v68, 0, v18, v17
	v_mul_u32_u24_e32 v17, 60, v70
	v_add_f16_e32 v12, v108, v59
	ds_write_b16 v69, v52 offset:20
	ds_write_b16 v69, v42 offset:40
	ds_write_b16 v68, v12
	ds_write_b16 v68, v111 offset:20
	v_add3_u32 v70, 0, v17, v13
	v_add_f16_e32 v12, v110, v58
	v_lshlrev_b32_sdwa v13, v39, v75 dst_sel:DWORD dst_unused:UNUSED_PAD src0_sel:DWORD src1_sel:WORD_0
	v_mul_u32_u24_e32 v17, 60, v73
	v_lshlrev_b32_sdwa v18, v39, v74 dst_sel:DWORD dst_unused:UNUSED_PAD src0_sel:DWORD src1_sel:WORD_0
	v_add_f16_e32 v73, v66, v89
	ds_write_b16 v68, v40 offset:40
	ds_write_b16 v70, v12
	v_add3_u32 v71, 0, v17, v13
	v_add_f16_e32 v12, v102, v84
	v_add3_u32 v72, 0, v19, v18
	v_add_f16_e32 v13, v115, v86
	ds_write_b16 v70, v109 offset:20
	ds_write_b16 v70, v28 offset:40
	ds_write_b16 v71, v12
	ds_write_b16 v71, v116 offset:20
	ds_write_b16 v71, v27 offset:40
	ds_write_b16 v72, v13
	ds_write_b16 v72, v113 offset:20
	ds_write_b16 v72, v41 offset:40
	s_waitcnt lgkmcnt(0)
	s_barrier
	buffer_gl0_inv
	ds_read_u16 v47, v29 offset:3564
	ds_read_u16 v45, v29 offset:3726
	;; [unrolled: 1-line block ×6, first 2 shown]
	ds_read_u16 v24, v29
	ds_read_u16 v23, v29 offset:162
	ds_read_u16 v22, v29 offset:324
	;; [unrolled: 1-line block ×23, first 2 shown]
	s_waitcnt lgkmcnt(0)
	s_barrier
	buffer_gl0_inv
	ds_write_b16 v112, v65
	v_add_f16_e32 v65, v87, v66
	v_fmac_f16_e32 v87, -0.5, v73
	v_sub_f16_e32 v5, v5, v8
	ds_write_b16 v112, v97 offset:20
	ds_write_b16 v112, v95 offset:40
	v_sub_f16_e32 v6, v9, v6
	v_add_f16_e32 v8, v65, v89
	v_add_f16_e32 v65, v60, v64
	v_fmamk_f16 v66, v5, 0xbaee, v87
	v_fmac_f16_e32 v87, 0x3aee, v5
	v_add_f16_e32 v5, v96, v60
	ds_write_b16 v118, v8
	v_fmac_f16_e32 v96, -0.5, v65
	v_add_f16_e32 v8, v91, v56
	ds_write_b16 v118, v66 offset:20
	v_add_f16_e32 v5, v5, v64
	ds_write_b16 v118, v87 offset:40
	v_fmamk_f16 v9, v6, 0xbaee, v96
	v_fmac_f16_e32 v96, 0x3aee, v6
	v_sub_f16_e32 v6, v7, v10
	ds_write_b16 v114, v5
	v_add_f16_e32 v5, v100, v91
	v_fmac_f16_e32 v100, -0.5, v8
	v_add_f16_e32 v7, v90, v99
	ds_write_b16 v114, v9 offset:20
	ds_write_b16 v114, v96 offset:40
	v_add_f16_e32 v10, v77, v92
	v_add_f16_e32 v5, v5, v56
	v_fmamk_f16 v8, v6, 0xbaee, v100
	v_fmac_f16_e32 v100, 0x3aee, v6
	v_add_f16_e32 v6, v101, v90
	v_fmac_f16_e32 v101, -0.5, v7
	ds_write_b16 v4, v5
	v_sub_f16_e32 v5, v57, v62
	ds_write_b16 v4, v8 offset:20
	v_add_f16_e32 v6, v6, v99
	ds_write_b16 v4, v100 offset:40
	v_add_f16_e32 v4, v94, v98
	v_fmamk_f16 v7, v5, 0xbaee, v101
	v_fmac_f16_e32 v101, 0x3aee, v5
	ds_write_b16 v67, v6
	v_add_f16_e32 v5, v104, v94
	v_add_f16_e32 v6, v103, v78
	v_fmac_f16_e32 v104, -0.5, v4
	v_sub_f16_e32 v4, v88, v61
	v_add_f16_e32 v8, v105, v103
	v_add_f16_e32 v5, v5, v98
	v_fmac_f16_e32 v105, -0.5, v6
	v_sub_f16_e32 v6, v63, v59
	ds_write_b16 v67, v7 offset:20
	v_fmamk_f16 v7, v4, 0xbaee, v104
	v_fmac_f16_e32 v104, 0x3aee, v4
	v_add_f16_e32 v4, v8, v78
	ds_write_b16 v67, v101 offset:40
	ds_write_b16 v69, v5
	v_fmamk_f16 v5, v6, 0xbaee, v105
	ds_write_b16 v69, v7 offset:20
	v_fmac_f16_e32 v105, 0x3aee, v6
	ds_write_b16 v69, v104 offset:40
	ds_write_b16 v68, v4
	v_add_f16_e32 v4, v79, v80
	ds_write_b16 v68, v5 offset:20
	ds_write_b16 v68, v105 offset:40
	v_add_f16_e32 v5, v81, v83
	v_add_f16_e32 v6, v106, v79
	v_fmac_f16_e32 v106, -0.5, v4
	v_sub_f16_e32 v4, v11, v58
	v_add_f16_e32 v7, v117, v81
	v_fmac_f16_e32 v117, -0.5, v5
	v_sub_f16_e32 v5, v82, v84
	v_add_f16_e32 v6, v6, v80
	v_mov_b32_e32 v69, 0x8889
	v_fmamk_f16 v8, v4, 0xbaee, v106
	v_fmac_f16_e32 v106, 0x3aee, v4
	v_add_f16_e32 v4, v7, v83
	v_add_f16_e32 v9, v92, v85
	v_mul_lo_u16 v7, 0x89, v15
	v_fmamk_f16 v11, v5, 0xbaee, v117
	v_fmac_f16_e32 v117, 0x3aee, v5
	v_add_f16_e32 v5, v10, v85
	ds_write_b16 v70, v6
	ds_write_b16 v70, v8 offset:20
	ds_write_b16 v70, v106 offset:40
	ds_write_b16 v71, v4
	v_mul_lo_u16 v4, 0x89, v16
	v_mul_u32_u24_sdwa v10, v34, v69 dst_sel:DWORD dst_unused:UNUSED_PAD src0_sel:WORD_0 src1_sel:DWORD
	v_fmac_f16_e32 v77, -0.5, v9
	v_sub_f16_e32 v9, v93, v86
	v_lshrrev_b16 v15, 12, v7
	v_mul_lo_u16 v6, 0x89, v14
	v_lshrrev_b16 v16, 12, v4
	v_lshrrev_b32_e32 v61, 20, v10
	v_fmamk_f16 v7, v9, 0xbaee, v77
	v_fmac_f16_e32 v77, 0x3aee, v9
	v_mul_lo_u16 v9, v15, 30
	v_lshrrev_b16 v57, 12, v6
	v_mul_lo_u16 v6, v16, 30
	v_mul_lo_u16 v10, v61, 30
	ds_write_b16 v71, v11 offset:20
	ds_write_b16 v71, v117 offset:40
	ds_write_b16 v72, v5
	v_sub_nc_u16 v56, v0, v9
	v_mul_lo_u16 v8, v57, 30
	v_sub_nc_u16 v60, v38, v6
	v_sub_nc_u16 v64, v34, v10
	ds_write_b16 v72, v7 offset:20
	v_lshlrev_b32_sdwa v5, v36, v56 dst_sel:DWORD dst_unused:UNUSED_PAD src0_sel:DWORD src1_sel:BYTE_0
	ds_write_b16 v72, v77 offset:40
	v_lshlrev_b32_sdwa v6, v36, v60 dst_sel:DWORD dst_unused:UNUSED_PAD src0_sel:DWORD src1_sel:BYTE_0
	v_lshlrev_b32_sdwa v65, v36, v64 dst_sel:DWORD dst_unused:UNUSED_PAD src0_sel:DWORD src1_sel:WORD_0
	s_waitcnt lgkmcnt(0)
	s_barrier
	buffer_gl0_inv
	global_load_dwordx2 v[4:5], v5, s[8:9] offset:80
	v_sub_nc_u16 v59, v37, v8
	s_clause 0x1
	global_load_dwordx2 v[8:9], v6, s[8:9] offset:80
	global_load_dwordx2 v[75:76], v65, s[8:9] offset:80
	v_mul_u32_u24_sdwa v63, v33, v69 dst_sel:DWORD dst_unused:UNUSED_PAD src0_sel:WORD_0 src1_sel:DWORD
	v_mul_u32_u24_sdwa v65, v35, v69 dst_sel:DWORD dst_unused:UNUSED_PAD src0_sel:WORD_0 src1_sel:DWORD
	;; [unrolled: 1-line block ×3, first 2 shown]
	v_lshlrev_b32_sdwa v11, v36, v59 dst_sel:DWORD dst_unused:UNUSED_PAD src0_sel:DWORD src1_sel:BYTE_0
	v_mul_u32_u24_sdwa v66, v30, v69 dst_sel:DWORD dst_unused:UNUSED_PAD src0_sel:WORD_0 src1_sel:DWORD
	v_lshrrev_b32_e32 v63, 20, v63
	v_lshrrev_b32_e32 v65, 20, v65
	;; [unrolled: 1-line block ×3, first 2 shown]
	v_mov_b32_e32 v112, 0xb4
	v_lshrrev_b32_e32 v66, 20, v66
	v_mul_lo_u16 v67, v63, 30
	v_mul_lo_u16 v71, v65, 30
	;; [unrolled: 1-line block ×3, first 2 shown]
	v_lshlrev_b32_sdwa v56, v39, v56 dst_sel:DWORD dst_unused:UNUSED_PAD src0_sel:DWORD src1_sel:BYTE_0
	v_mul_u32_u24_sdwa v15, v15, v112 dst_sel:DWORD dst_unused:UNUSED_PAD src0_sel:WORD_0 src1_sel:DWORD
	v_sub_nc_u16 v68, v33, v67
	v_sub_nc_u16 v73, v35, v71
	;; [unrolled: 1-line block ×3, first 2 shown]
	global_load_dwordx2 v[6:7], v11, s[8:9] offset:80
	v_mul_lo_u16 v67, v66, 30
	v_lshlrev_b32_sdwa v70, v36, v68 dst_sel:DWORD dst_unused:UNUSED_PAD src0_sel:DWORD src1_sel:WORD_0
	v_lshlrev_b32_sdwa v74, v36, v73 dst_sel:DWORD dst_unused:UNUSED_PAD src0_sel:DWORD src1_sel:WORD_0
	v_add3_u32 v15, 0, v15, v56
	v_lshlrev_b32_sdwa v56, v39, v60 dst_sel:DWORD dst_unused:UNUSED_PAD src0_sel:DWORD src1_sel:BYTE_0
	v_sub_nc_u16 v67, v30, v67
	s_clause 0x1
	global_load_dwordx2 v[77:78], v70, s[8:9] offset:80
	global_load_dwordx2 v[81:82], v74, s[8:9] offset:80
	v_lshlrev_b32_sdwa v11, v36, v62 dst_sel:DWORD dst_unused:UNUSED_PAD src0_sel:DWORD src1_sel:WORD_0
	v_mul_u32_u24_sdwa v70, v32, v69 dst_sel:DWORD dst_unused:UNUSED_PAD src0_sel:WORD_0 src1_sel:DWORD
	v_mul_u32_u24_sdwa v69, v31, v69 dst_sel:DWORD dst_unused:UNUSED_PAD src0_sel:WORD_0 src1_sel:DWORD
	v_lshlrev_b32_sdwa v72, v36, v67 dst_sel:DWORD dst_unused:UNUSED_PAD src0_sel:DWORD src1_sel:WORD_0
	v_mul_u32_u24_sdwa v16, v16, v112 dst_sel:DWORD dst_unused:UNUSED_PAD src0_sel:WORD_0 src1_sel:DWORD
	global_load_dwordx2 v[10:11], v11, s[8:9] offset:80
	v_lshrrev_b32_e32 v70, 20, v70
	v_lshrrev_b32_e32 v69, 20, v69
	global_load_dwordx2 v[79:80], v72, s[8:9] offset:80
	v_add3_u32 v16, 0, v16, v56
	v_mul_u32_u24_e32 v56, 0xb4, v58
	v_mul_lo_u16 v71, v70, 30
	v_sub_nc_u16 v72, v32, v71
	v_mul_lo_u16 v71, v69, 30
	v_lshlrev_b32_sdwa v74, v36, v72 dst_sel:DWORD dst_unused:UNUSED_PAD src0_sel:DWORD src1_sel:WORD_0
	v_sub_nc_u16 v71, v31, v71
	global_load_dwordx2 v[83:84], v74, s[8:9] offset:80
	v_lshlrev_b32_sdwa v74, v36, v71 dst_sel:DWORD dst_unused:UNUSED_PAD src0_sel:DWORD src1_sel:WORD_0
	global_load_dwordx2 v[85:86], v74, s[8:9] offset:80
	ds_read_u16 v87, v29 offset:1620
	ds_read_u16 v88, v29 offset:3240
	;; [unrolled: 1-line block ×12, first 2 shown]
	s_waitcnt vmcnt(9) lgkmcnt(11)
	v_mul_f16_sdwa v95, v87, v4 dst_sel:DWORD dst_unused:UNUSED_PAD src0_sel:DWORD src1_sel:WORD_1
	v_mul_f16_sdwa v96, v54, v4 dst_sel:DWORD dst_unused:UNUSED_PAD src0_sel:DWORD src1_sel:WORD_1
	s_waitcnt lgkmcnt(10)
	v_mul_f16_sdwa v100, v88, v5 dst_sel:DWORD dst_unused:UNUSED_PAD src0_sel:DWORD src1_sel:WORD_1
	v_mul_f16_sdwa v101, v55, v5 dst_sel:DWORD dst_unused:UNUSED_PAD src0_sel:DWORD src1_sel:WORD_1
	v_fma_f16 v54, v54, v4, -v95
	v_fmac_f16_e32 v96, v87, v4
	v_fma_f16 v4, v55, v5, -v100
	v_fmac_f16_e32 v101, v88, v5
	s_waitcnt vmcnt(8) lgkmcnt(9)
	v_mul_f16_sdwa v5, v89, v8 dst_sel:DWORD dst_unused:UNUSED_PAD src0_sel:DWORD src1_sel:WORD_1
	v_mul_f16_sdwa v87, v52, v8 dst_sel:DWORD dst_unused:UNUSED_PAD src0_sel:DWORD src1_sel:WORD_1
	s_waitcnt lgkmcnt(8)
	v_mul_f16_sdwa v55, v90, v9 dst_sel:DWORD dst_unused:UNUSED_PAD src0_sel:DWORD src1_sel:WORD_1
	v_mul_f16_sdwa v88, v53, v9 dst_sel:DWORD dst_unused:UNUSED_PAD src0_sel:DWORD src1_sel:WORD_1
	v_fma_f16 v5, v52, v8, -v5
	ds_read_u16 v52, v29 offset:3888
	v_fmac_f16_e32 v87, v89, v8
	v_fma_f16 v8, v53, v9, -v55
	v_fmac_f16_e32 v88, v90, v9
	s_waitcnt vmcnt(6) lgkmcnt(8)
	v_mul_f16_sdwa v95, v91, v6 dst_sel:DWORD dst_unused:UNUSED_PAD src0_sel:DWORD src1_sel:WORD_1
	v_mul_f16_sdwa v89, v50, v6 dst_sel:DWORD dst_unused:UNUSED_PAD src0_sel:DWORD src1_sel:WORD_1
	;; [unrolled: 1-line block ×3, first 2 shown]
	v_fma_f16 v9, v50, v6, -v95
	s_waitcnt lgkmcnt(3)
	v_mul_f16_sdwa v50, v97, v7 dst_sel:DWORD dst_unused:UNUSED_PAD src0_sel:DWORD src1_sel:WORD_1
	v_fmac_f16_e32 v89, v91, v6
	v_fmac_f16_e32 v90, v97, v7
	s_waitcnt vmcnt(5)
	v_mul_f16_sdwa v102, v94, v77 dst_sel:DWORD dst_unused:UNUSED_PAD src0_sel:DWORD src1_sel:WORD_1
	v_fma_f16 v6, v47, v7, -v50
	v_mul_f16_sdwa v47, v93, v75 dst_sel:DWORD dst_unused:UNUSED_PAD src0_sel:DWORD src1_sel:WORD_1
	s_waitcnt vmcnt(3)
	v_mul_f16_sdwa v53, v92, v10 dst_sel:DWORD dst_unused:UNUSED_PAD src0_sel:DWORD src1_sel:WORD_1
	v_mul_f16_sdwa v95, v48, v10 dst_sel:DWORD dst_unused:UNUSED_PAD src0_sel:DWORD src1_sel:WORD_1
	;; [unrolled: 1-line block ×3, first 2 shown]
	v_fma_f16 v103, v42, v75, -v47
	v_fma_f16 v7, v48, v10, -v53
	ds_read_u16 v48, v29 offset:4050
	v_fmac_f16_e32 v95, v92, v10
	s_waitcnt lgkmcnt(3)
	v_mul_f16_sdwa v10, v98, v11 dst_sel:DWORD dst_unused:UNUSED_PAD src0_sel:DWORD src1_sel:WORD_1
	ds_read_u16 v50, v29 offset:2592
	v_fmac_f16_e32 v91, v98, v11
	v_mul_f16_sdwa v92, v42, v75 dst_sel:DWORD dst_unused:UNUSED_PAD src0_sel:DWORD src1_sel:WORD_1
	s_waitcnt lgkmcnt(2)
	v_mul_f16_sdwa v97, v52, v76 dst_sel:DWORD dst_unused:UNUSED_PAD src0_sel:DWORD src1_sel:WORD_1
	v_fma_f16 v10, v45, v11, -v10
	ds_read_u16 v11, v29 offset:4212
	ds_read_u16 v45, v29 offset:4374
	;; [unrolled: 1-line block ×5, first 2 shown]
	v_mul_f16_sdwa v98, v51, v76 dst_sel:DWORD dst_unused:UNUSED_PAD src0_sel:DWORD src1_sel:WORD_1
	v_fmac_f16_e32 v92, v93, v75
	v_fma_f16 v75, v51, v76, -v97
	v_mul_f16_sdwa v93, v40, v77 dst_sel:DWORD dst_unused:UNUSED_PAD src0_sel:DWORD src1_sel:WORD_1
	v_mul_f16_sdwa v97, v49, v78 dst_sel:DWORD dst_unused:UNUSED_PAD src0_sel:DWORD src1_sel:WORD_1
	v_fmac_f16_e32 v98, v52, v76
	v_fma_f16 v76, v40, v77, -v102
	ds_read_u16 v40, v29 offset:2916
	s_waitcnt vmcnt(2)
	v_mul_f16_sdwa v102, v43, v79 dst_sel:DWORD dst_unused:UNUSED_PAD src0_sel:DWORD src1_sel:WORD_1
	v_fmac_f16_e32 v93, v94, v77
	s_waitcnt lgkmcnt(7)
	v_mul_f16_sdwa v42, v48, v78 dst_sel:DWORD dst_unused:UNUSED_PAD src0_sel:DWORD src1_sel:WORD_1
	v_fmac_f16_e32 v97, v48, v78
	v_mul_f16_sdwa v94, v28, v81 dst_sel:DWORD dst_unused:UNUSED_PAD src0_sel:DWORD src1_sel:WORD_1
	s_waitcnt lgkmcnt(6)
	v_mul_f16_sdwa v47, v50, v79 dst_sel:DWORD dst_unused:UNUSED_PAD src0_sel:DWORD src1_sel:WORD_1
	v_fmac_f16_e32 v102, v50, v79
	v_fma_f16 v77, v49, v78, -v42
	ds_read_u16 v105, v29
	s_waitcnt lgkmcnt(6)
	v_mul_f16_sdwa v42, v11, v80 dst_sel:DWORD dst_unused:UNUSED_PAD src0_sel:DWORD src1_sel:WORD_1
	v_fma_f16 v78, v43, v79, -v47
	v_mul_f16_sdwa v79, v46, v80 dst_sel:DWORD dst_unused:UNUSED_PAD src0_sel:DWORD src1_sel:WORD_1
	s_waitcnt lgkmcnt(2)
	v_mul_f16_sdwa v43, v100, v81 dst_sel:DWORD dst_unused:UNUSED_PAD src0_sel:DWORD src1_sel:WORD_1
	v_fmac_f16_e32 v94, v100, v81
	v_mul_f16_sdwa v47, v45, v82 dst_sel:DWORD dst_unused:UNUSED_PAD src0_sel:DWORD src1_sel:WORD_1
	v_fma_f16 v104, v46, v80, -v42
	v_fmac_f16_e32 v79, v11, v80
	v_fma_f16 v11, v28, v81, -v43
	s_waitcnt vmcnt(1)
	v_mul_f16_sdwa v81, v26, v83 dst_sel:DWORD dst_unused:UNUSED_PAD src0_sel:DWORD src1_sel:WORD_1
	v_mul_f16_sdwa v28, v44, v82 dst_sel:DWORD dst_unused:UNUSED_PAD src0_sel:DWORD src1_sel:WORD_1
	s_waitcnt lgkmcnt(1)
	v_mul_f16_sdwa v42, v40, v83 dst_sel:DWORD dst_unused:UNUSED_PAD src0_sel:DWORD src1_sel:WORD_1
	v_mul_f16_sdwa v43, v53, v84 dst_sel:DWORD dst_unused:UNUSED_PAD src0_sel:DWORD src1_sel:WORD_1
	v_fma_f16 v80, v44, v82, -v47
	v_fmac_f16_e32 v81, v40, v83
	s_waitcnt vmcnt(0)
	v_mul_f16_sdwa v40, v99, v85 dst_sel:DWORD dst_unused:UNUSED_PAD src0_sel:DWORD src1_sel:WORD_1
	v_fmac_f16_e32 v28, v45, v82
	v_fma_f16 v26, v26, v83, -v42
	v_mul_f16_sdwa v82, v41, v84 dst_sel:DWORD dst_unused:UNUSED_PAD src0_sel:DWORD src1_sel:WORD_1
	v_fma_f16 v83, v41, v84, -v43
	v_mul_f16_sdwa v100, v25, v85 dst_sel:DWORD dst_unused:UNUSED_PAD src0_sel:DWORD src1_sel:WORD_1
	v_mul_f16_sdwa v41, v55, v86 dst_sel:DWORD dst_unused:UNUSED_PAD src0_sel:DWORD src1_sel:WORD_1
	v_fma_f16 v25, v25, v85, -v40
	v_add_f16_e32 v40, v54, v4
	v_fmac_f16_e32 v82, v53, v84
	v_mul_f16_sdwa v84, v27, v86 dst_sel:DWORD dst_unused:UNUSED_PAD src0_sel:DWORD src1_sel:WORD_1
	v_fma_f16 v27, v27, v86, -v41
	v_add_f16_e32 v41, v96, v101
	v_add_f16_e32 v42, v24, v54
	v_fmac_f16_e32 v24, -0.5, v40
	v_sub_f16_e32 v40, v96, v101
	s_waitcnt lgkmcnt(0)
	v_add_f16_e32 v43, v105, v96
	v_fmac_f16_e32 v105, -0.5, v41
	v_add_f16_e32 v41, v42, v4
	v_add_f16_e32 v46, v7, v10
	v_fmamk_f16 v42, v40, 0x3aee, v24
	v_fmac_f16_e32 v24, 0xbaee, v40
	v_add_f16_e32 v40, v5, v8
	v_add_f16_e32 v96, v43, v101
	;; [unrolled: 1-line block ×3, first 2 shown]
	v_sub_f16_e32 v4, v54, v4
	v_add_f16_e32 v44, v23, v5
	v_fmac_f16_e32 v23, -0.5, v40
	v_sub_f16_e32 v40, v87, v88
	v_add_f16_e32 v45, v22, v9
	v_fmac_f16_e32 v22, -0.5, v43
	v_sub_f16_e32 v43, v89, v90
	v_add_f16_e32 v47, v103, v75
	v_add_f16_e32 v48, v21, v7
	v_fmac_f16_e32 v21, -0.5, v46
	v_sub_f16_e32 v46, v95, v91
	v_fmamk_f16 v101, v4, 0xbaee, v105
	v_fmac_f16_e32 v105, 0x3aee, v4
	v_fmamk_f16 v4, v40, 0x3aee, v23
	v_fmac_f16_e32 v23, 0xbaee, v40
	v_fmamk_f16 v40, v43, 0x3aee, v22
	v_add_f16_e32 v49, v20, v103
	v_fmac_f16_e32 v20, -0.5, v47
	v_sub_f16_e32 v47, v92, v98
	v_fmac_f16_e32 v22, 0xbaee, v43
	v_fmamk_f16 v43, v46, 0x3aee, v21
	v_fmac_f16_e32 v21, 0xbaee, v46
	v_add_f16_e32 v46, v76, v77
	v_add_f16_e32 v51, v78, v104
	v_fmamk_f16 v50, v47, 0x3aee, v20
	v_fmac_f16_e32 v20, 0xbaee, v47
	v_add_f16_e32 v47, v19, v76
	v_fmac_f16_e32 v19, -0.5, v46
	v_sub_f16_e32 v46, v93, v97
	v_add_f16_e32 v52, v11, v80
	v_add_f16_e32 v53, v18, v78
	v_fmac_f16_e32 v18, -0.5, v51
	v_sub_f16_e32 v51, v102, v79
	v_fmac_f16_e32 v100, v99, v85
	v_fmac_f16_e32 v84, v55, v86
	v_add_f16_e32 v54, v12, v11
	v_fmac_f16_e32 v12, -0.5, v52
	v_sub_f16_e32 v52, v94, v28
	v_fmamk_f16 v55, v46, 0x3aee, v19
	v_fmac_f16_e32 v19, 0xbaee, v46
	v_fmamk_f16 v46, v51, 0x3aee, v18
	v_fmac_f16_e32 v18, 0xbaee, v51
	v_add_f16_e32 v51, v26, v83
	v_add_f16_e32 v111, v25, v27
	v_fmamk_f16 v110, v52, 0x3aee, v12
	v_fmac_f16_e32 v12, 0xbaee, v52
	v_add_f16_e32 v52, v13, v26
	v_fmac_f16_e32 v13, -0.5, v51
	v_sub_f16_e32 v51, v81, v82
	v_add_f16_e32 v113, v17, v25
	v_fmac_f16_e32 v17, -0.5, v111
	v_sub_f16_e32 v111, v100, v84
	ds_read_u16 v85, v29 offset:162
	ds_read_u16 v86, v29 offset:324
	;; [unrolled: 1-line block ×7, first 2 shown]
	v_fmamk_f16 v114, v51, 0x3aee, v13
	v_fmac_f16_e32 v13, 0xbaee, v51
	v_sub_f16_e32 v5, v5, v8
	v_fmamk_f16 v51, v111, 0x3aee, v17
	v_fmac_f16_e32 v17, 0xbaee, v111
	ds_read_u16 v111, v29 offset:1296
	s_waitcnt lgkmcnt(0)
	s_barrier
	buffer_gl0_inv
	ds_write_b16 v15, v41
	ds_write_b16 v15, v42 offset:60
	v_add_f16_e32 v41, v44, v8
	v_mul_u32_u24_sdwa v42, v57, v112 dst_sel:DWORD dst_unused:UNUSED_PAD src0_sel:WORD_0 src1_sel:DWORD
	v_lshlrev_b32_sdwa v44, v39, v59 dst_sel:DWORD dst_unused:UNUSED_PAD src0_sel:DWORD src1_sel:BYTE_0
	ds_write_b16 v15, v24 offset:120
	v_lshlrev_b32_sdwa v24, v39, v62 dst_sel:DWORD dst_unused:UNUSED_PAD src0_sel:DWORD src1_sel:WORD_0
	ds_write_b16 v16, v41
	v_add_f16_e32 v41, v45, v6
	v_add3_u32 v112, 0, v42, v44
	ds_write_b16 v16, v4 offset:60
	v_add3_u32 v4, 0, v56, v24
	v_add_f16_e32 v24, v48, v10
	ds_write_b16 v16, v23 offset:120
	ds_write_b16 v112, v41
	ds_write_b16 v112, v40 offset:60
	ds_write_b16 v112, v22 offset:120
	ds_write_b16 v4, v24
	v_lshlrev_b32_sdwa v22, v39, v64 dst_sel:DWORD dst_unused:UNUSED_PAD src0_sel:DWORD src1_sel:WORD_0
	v_mul_u32_u24_e32 v23, 0xb4, v61
	v_lshlrev_b32_sdwa v24, v39, v68 dst_sel:DWORD dst_unused:UNUSED_PAD src0_sel:DWORD src1_sel:WORD_0
	v_mul_u32_u24_e32 v40, 0xb4, v63
	ds_write_b16 v4, v43 offset:60
	ds_write_b16 v4, v21 offset:120
	v_mul_u32_u24_e32 v41, 0xb4, v66
	v_add3_u32 v21, 0, v23, v22
	v_add_f16_e32 v22, v49, v75
	v_add3_u32 v23, 0, v40, v24
	v_lshlrev_b32_sdwa v40, v39, v67 dst_sel:DWORD dst_unused:UNUSED_PAD src0_sel:DWORD src1_sel:WORD_0
	v_add_f16_e32 v24, v47, v77
	ds_write_b16 v21, v22
	ds_write_b16 v21, v50 offset:60
	ds_write_b16 v21, v20 offset:120
	ds_write_b16 v23, v24
	v_lshlrev_b32_sdwa v24, v39, v73 dst_sel:DWORD dst_unused:UNUSED_PAD src0_sel:DWORD src1_sel:WORD_0
	v_add3_u32 v20, 0, v41, v40
	v_mul_u32_u24_e32 v40, 0xb4, v65
	v_add_f16_e32 v22, v53, v104
	ds_write_b16 v23, v55 offset:60
	ds_write_b16 v23, v19 offset:120
	ds_write_b16 v20, v22
	ds_write_b16 v20, v46 offset:60
	v_add3_u32 v19, 0, v40, v24
	v_add_f16_e32 v22, v54, v80
	v_lshlrev_b32_sdwa v24, v39, v72 dst_sel:DWORD dst_unused:UNUSED_PAD src0_sel:DWORD src1_sel:WORD_0
	v_mul_u32_u24_e32 v40, 0xb4, v70
	ds_write_b16 v20, v18 offset:120
	v_lshlrev_b32_sdwa v18, v39, v71 dst_sel:DWORD dst_unused:UNUSED_PAD src0_sel:DWORD src1_sel:WORD_0
	v_mul_u32_u24_e32 v41, 0xb4, v69
	ds_write_b16 v19, v22
	v_add3_u32 v22, 0, v40, v24
	v_add_f16_e32 v24, v52, v83
	v_add_f16_e32 v40, v113, v27
	v_add3_u32 v18, 0, v41, v18
	ds_write_b16 v19, v110 offset:60
	ds_write_b16 v19, v12 offset:120
	ds_write_b16 v22, v24
	ds_write_b16 v22, v114 offset:60
	ds_write_b16 v22, v13 offset:120
	ds_write_b16 v18, v40
	ds_write_b16 v18, v51 offset:60
	ds_write_b16 v18, v17 offset:120
	v_add_f16_e32 v12, v87, v88
	v_add_f16_e32 v13, v85, v87
	v_sub_f16_e32 v6, v9, v6
	s_waitcnt lgkmcnt(0)
	s_barrier
	v_fmac_f16_e32 v85, -0.5, v12
	v_add_f16_e32 v12, v89, v90
	v_add_f16_e32 v8, v13, v88
	buffer_gl0_inv
	ds_read_u16 v61, v29 offset:3564
	ds_read_u16 v59, v29 offset:3726
	;; [unrolled: 1-line block ×6, first 2 shown]
	ds_read_u16 v49, v29
	ds_read_u16 v48, v29 offset:162
	ds_read_u16 v47, v29 offset:324
	;; [unrolled: 1-line block ×23, first 2 shown]
	v_fmamk_f16 v13, v5, 0xbaee, v85
	v_fmac_f16_e32 v85, 0x3aee, v5
	v_add_f16_e32 v5, v86, v89
	v_fmac_f16_e32 v86, -0.5, v12
	s_waitcnt lgkmcnt(0)
	s_barrier
	buffer_gl0_inv
	ds_write_b16 v15, v96
	ds_write_b16 v15, v101 offset:60
	ds_write_b16 v15, v105 offset:120
	ds_write_b16 v16, v8
	v_add_f16_e32 v5, v5, v90
	v_add_f16_e32 v8, v95, v91
	v_fmamk_f16 v9, v6, 0xbaee, v86
	v_fmac_f16_e32 v86, 0x3aee, v6
	v_add_f16_e32 v6, v99, v95
	ds_write_b16 v16, v13 offset:60
	ds_write_b16 v16, v85 offset:120
	ds_write_b16 v112, v5
	v_fmac_f16_e32 v99, -0.5, v8
	v_sub_f16_e32 v5, v7, v10
	v_add_f16_e32 v6, v6, v91
	v_add_f16_e32 v7, v92, v98
	ds_write_b16 v112, v9 offset:60
	ds_write_b16 v112, v86 offset:120
	v_fmamk_f16 v8, v5, 0xbaee, v99
	v_fmac_f16_e32 v99, 0x3aee, v5
	ds_write_b16 v4, v6
	v_add_f16_e32 v5, v106, v92
	v_fmac_f16_e32 v106, -0.5, v7
	v_sub_f16_e32 v6, v103, v75
	v_add_f16_e32 v7, v93, v97
	ds_write_b16 v4, v8 offset:60
	ds_write_b16 v4, v99 offset:120
	v_add_f16_e32 v4, v5, v98
	v_fmamk_f16 v5, v6, 0xbaee, v106
	v_add_f16_e32 v8, v107, v93
	v_fmac_f16_e32 v107, -0.5, v7
	v_sub_f16_e32 v7, v76, v77
	v_fmac_f16_e32 v106, 0x3aee, v6
	ds_write_b16 v21, v5 offset:60
	ds_write_b16 v21, v4
	v_add_f16_e32 v4, v8, v97
	v_fmamk_f16 v5, v7, 0xbaee, v107
	v_fmac_f16_e32 v107, 0x3aee, v7
	ds_write_b16 v21, v106 offset:120
	ds_write_b16 v23, v4
	v_add_f16_e32 v4, v102, v79
	ds_write_b16 v23, v5 offset:60
	ds_write_b16 v23, v107 offset:120
	v_add_f16_e32 v5, v94, v28
	v_add_f16_e32 v6, v108, v102
	;; [unrolled: 1-line block ×3, first 2 shown]
	v_fmac_f16_e32 v108, -0.5, v4
	v_sub_f16_e32 v4, v78, v104
	v_fmac_f16_e32 v109, -0.5, v5
	v_sub_f16_e32 v5, v11, v80
	v_add_f16_e32 v10, v111, v81
	v_add_f16_e32 v11, v74, v100
	v_fmamk_f16 v8, v4, 0xbaee, v108
	v_fmac_f16_e32 v108, 0x3aee, v4
	v_add_f16_e32 v4, v7, v28
	v_add_f16_e32 v7, v81, v82
	v_fmamk_f16 v9, v5, 0xbaee, v109
	v_fmac_f16_e32 v109, 0x3aee, v5
	v_add_f16_e32 v5, v100, v84
	v_add_f16_e32 v6, v6, v79
	v_fmac_f16_e32 v111, -0.5, v7
	v_sub_f16_e32 v7, v26, v83
	v_mov_b32_e32 v21, 0x2d83
	v_fmac_f16_e32 v74, -0.5, v5
	v_sub_f16_e32 v5, v25, v27
	v_add_f16_e32 v10, v10, v82
	v_fmamk_f16 v12, v7, 0xbaee, v111
	v_fmac_f16_e32 v111, 0x3aee, v7
	v_add_f16_e32 v7, v11, v84
	v_fmamk_f16 v11, v5, 0xbaee, v74
	v_fmac_f16_e32 v74, 0x3aee, v5
	ds_write_b16 v20, v6
	ds_write_b16 v20, v8 offset:60
	ds_write_b16 v20, v108 offset:120
	ds_write_b16 v19, v4
	ds_write_b16 v19, v9 offset:60
	ds_write_b16 v19, v109 offset:120
	;; [unrolled: 3-line block ×3, first 2 shown]
	ds_write_b16 v18, v7
	ds_write_b16 v18, v11 offset:60
	v_add_nc_u32_e32 v6, -9, v0
	v_mul_lo_u16 v10, 0xb7, v14
	ds_write_b16 v18, v74 offset:120
	v_mul_u32_u24_sdwa v18, v33, v21 dst_sel:DWORD dst_unused:UNUSED_PAD src0_sel:WORD_0 src1_sel:DWORD
	v_mul_u32_u24_sdwa v13, v1, v21 dst_sel:DWORD dst_unused:UNUSED_PAD src0_sel:WORD_0 src1_sel:DWORD
	v_mov_b32_e32 v5, 0
	v_cndmask_b32_e64 v8, v6, v38, s0
	v_lshlrev_b32_e32 v4, 1, v0
	v_lshrrev_b32_e32 v75, 20, v18
	v_mul_u32_u24_sdwa v18, v30, v21 dst_sel:DWORD dst_unused:UNUSED_PAD src0_sel:WORD_0 src1_sel:DWORD
	v_lshrrev_b16 v70, 14, v10
	v_lshrrev_b32_e32 v71, 20, v13
	v_lshlrev_b32_e32 v8, 1, v8
	v_mov_b32_e32 v9, v5
	v_lshrrev_b32_e32 v78, 20, v18
	v_lshlrev_b64 v[6:7], 2, v[4:5]
	v_mul_lo_u16 v14, 0x5a, v70
	v_mul_lo_u16 v15, 0x5a, v71
	v_lshlrev_b64 v[11:12], 2, v[8:9]
	v_mul_lo_u16 v18, 0x5a, v78
	v_mul_u32_u24_sdwa v16, v34, v21 dst_sel:DWORD dst_unused:UNUSED_PAD src0_sel:WORD_0 src1_sel:DWORD
	v_add_co_u32 v6, s0, s8, v6
	v_sub_nc_u16 v72, v37, v14
	v_sub_nc_u16 v74, v1, v15
	;; [unrolled: 1-line block ×3, first 2 shown]
	v_add_co_ci_u32_e64 v7, s0, s9, v7, s0
	v_add_co_u32 v11, s0, s8, v11
	v_add_co_ci_u32_e64 v12, s0, s9, v12, s0
	v_lshlrev_b32_sdwa v17, v36, v72 dst_sel:DWORD dst_unused:UNUSED_PAD src0_sel:DWORD src1_sel:BYTE_0
	v_lshrrev_b32_e32 v73, 20, v16
	v_lshlrev_b32_sdwa v15, v36, v74 dst_sel:DWORD dst_unused:UNUSED_PAD src0_sel:DWORD src1_sel:WORD_0
	v_lshlrev_b32_sdwa v24, v36, v79 dst_sel:DWORD dst_unused:UNUSED_PAD src0_sel:DWORD src1_sel:WORD_0
	s_waitcnt lgkmcnt(0)
	s_barrier
	buffer_gl0_inv
	s_clause 0x4
	global_load_dwordx2 v[9:10], v[6:7], off offset:320
	global_load_dwordx2 v[13:14], v[11:12], off offset:320
	global_load_dwordx2 v[11:12], v17, s[8:9] offset:320
	global_load_dwordx2 v[25:26], v24, s[8:9] offset:320
	;; [unrolled: 1-line block ×3, first 2 shown]
	v_mul_lo_u16 v17, 0x5a, v73
	v_mul_lo_u16 v22, 0x5a, v75
	v_cmp_lt_u32_e64 s0, 8, v0
	v_sub_nc_u16 v76, v34, v17
	v_sub_nc_u16 v80, v33, v22
	v_lshlrev_b32_sdwa v17, v36, v76 dst_sel:DWORD dst_unused:UNUSED_PAD src0_sel:DWORD src1_sel:WORD_0
	v_lshlrev_b32_sdwa v22, v36, v80 dst_sel:DWORD dst_unused:UNUSED_PAD src0_sel:DWORD src1_sel:WORD_0
	global_load_dwordx2 v[19:20], v17, s[8:9] offset:320
	v_mul_u32_u24_sdwa v17, v35, v21 dst_sel:DWORD dst_unused:UNUSED_PAD src0_sel:WORD_0 src1_sel:DWORD
	v_lshrrev_b32_e32 v77, 20, v17
	global_load_dwordx2 v[17:18], v22, s[8:9] offset:320
	v_mul_lo_u16 v23, 0x5a, v77
	v_sub_nc_u16 v84, v35, v23
	v_lshlrev_b32_sdwa v23, v36, v84 dst_sel:DWORD dst_unused:UNUSED_PAD src0_sel:DWORD src1_sel:WORD_0
	global_load_dwordx2 v[27:28], v23, s[8:9] offset:320
	v_mul_u32_u24_sdwa v22, v32, v21 dst_sel:DWORD dst_unused:UNUSED_PAD src0_sel:WORD_0 src1_sel:DWORD
	v_mul_u32_u24_sdwa v21, v31, v21 dst_sel:DWORD dst_unused:UNUSED_PAD src0_sel:WORD_0 src1_sel:DWORD
	v_lshrrev_b32_e32 v81, 20, v22
	v_lshrrev_b32_e32 v21, 20, v21
	v_mul_lo_u16 v22, 0x5a, v81
	v_mul_lo_u16 v21, 0x5a, v21
	v_sub_nc_u16 v83, v32, v22
	v_sub_nc_u16 v21, v31, v21
	v_lshlrev_b32_sdwa v22, v36, v83 dst_sel:DWORD dst_unused:UNUSED_PAD src0_sel:DWORD src1_sel:WORD_0
	v_and_b32_e32 v82, 0xffff, v21
	global_load_dwordx2 v[23:24], v22, s[8:9] offset:320
	v_lshlrev_b32_e32 v21, 3, v82
	global_load_dwordx2 v[21:22], v21, s[8:9] offset:320
	ds_read_u16 v85, v29 offset:1620
	ds_read_u16 v86, v29 offset:3240
	ds_read_u16 v87, v29 offset:1782
	ds_read_u16 v88, v29 offset:3402
	ds_read_u16 v89, v29 offset:1944
	ds_read_u16 v90, v29 offset:2106
	ds_read_u16 v91, v29 offset:2268
	ds_read_u16 v92, v29 offset:2430
	ds_read_u16 v93, v29 offset:1458
	ds_read_u16 v96, v29 offset:3564
	ds_read_u16 v97, v29 offset:3726
	ds_read_u16 v98, v29 offset:3078
	s_waitcnt vmcnt(9) lgkmcnt(11)
	v_mul_f16_sdwa v94, v85, v9 dst_sel:DWORD dst_unused:UNUSED_PAD src0_sel:DWORD src1_sel:WORD_1
	v_mul_f16_sdwa v95, v68, v9 dst_sel:DWORD dst_unused:UNUSED_PAD src0_sel:DWORD src1_sel:WORD_1
	s_waitcnt lgkmcnt(10)
	v_mul_f16_sdwa v99, v86, v10 dst_sel:DWORD dst_unused:UNUSED_PAD src0_sel:DWORD src1_sel:WORD_1
	v_mul_f16_sdwa v100, v69, v10 dst_sel:DWORD dst_unused:UNUSED_PAD src0_sel:DWORD src1_sel:WORD_1
	v_fma_f16 v68, v68, v9, -v94
	v_fmac_f16_e32 v95, v85, v9
	v_fma_f16 v9, v69, v10, -v99
	v_fmac_f16_e32 v100, v86, v10
	s_waitcnt vmcnt(8) lgkmcnt(9)
	v_mul_f16_sdwa v10, v87, v13 dst_sel:DWORD dst_unused:UNUSED_PAD src0_sel:DWORD src1_sel:WORD_1
	v_mul_f16_sdwa v69, v66, v13 dst_sel:DWORD dst_unused:UNUSED_PAD src0_sel:DWORD src1_sel:WORD_1
	s_waitcnt lgkmcnt(8)
	v_mul_f16_sdwa v85, v88, v14 dst_sel:DWORD dst_unused:UNUSED_PAD src0_sel:DWORD src1_sel:WORD_1
	v_mul_f16_sdwa v86, v67, v14 dst_sel:DWORD dst_unused:UNUSED_PAD src0_sel:DWORD src1_sel:WORD_1
	s_waitcnt vmcnt(7) lgkmcnt(7)
	v_mul_f16_sdwa v94, v89, v11 dst_sel:DWORD dst_unused:UNUSED_PAD src0_sel:DWORD src1_sel:WORD_1
	v_fma_f16 v10, v66, v13, -v10
	v_fmac_f16_e32 v69, v87, v13
	v_fma_f16 v13, v67, v14, -v85
	ds_read_u16 v85, v29 offset:3888
	v_fmac_f16_e32 v86, v88, v14
	v_fma_f16 v66, v64, v11, -v94
	v_mul_f16_sdwa v64, v64, v11 dst_sel:DWORD dst_unused:UNUSED_PAD src0_sel:DWORD src1_sel:WORD_1
	s_waitcnt lgkmcnt(3)
	v_mul_f16_sdwa v14, v96, v12 dst_sel:DWORD dst_unused:UNUSED_PAD src0_sel:DWORD src1_sel:WORD_1
	v_mul_f16_sdwa v67, v61, v12 dst_sel:DWORD dst_unused:UNUSED_PAD src0_sel:DWORD src1_sel:WORD_1
	s_waitcnt vmcnt(5)
	v_mul_f16_sdwa v87, v90, v15 dst_sel:DWORD dst_unused:UNUSED_PAD src0_sel:DWORD src1_sel:WORD_1
	v_mul_f16_sdwa v88, v62, v15 dst_sel:DWORD dst_unused:UNUSED_PAD src0_sel:DWORD src1_sel:WORD_1
	v_fmac_f16_e32 v64, v89, v11
	v_fma_f16 v11, v61, v12, -v14
	s_waitcnt lgkmcnt(2)
	v_mul_f16_sdwa v14, v97, v16 dst_sel:DWORD dst_unused:UNUSED_PAD src0_sel:DWORD src1_sel:WORD_1
	v_mul_f16_sdwa v61, v59, v16 dst_sel:DWORD dst_unused:UNUSED_PAD src0_sel:DWORD src1_sel:WORD_1
	v_fmac_f16_e32 v67, v96, v12
	v_fma_f16 v12, v62, v15, -v87
	v_fmac_f16_e32 v88, v90, v15
	ds_read_u16 v15, v29 offset:4050
	v_fma_f16 v59, v59, v16, -v14
	ds_read_u16 v14, v29 offset:2592
	v_fmac_f16_e32 v61, v97, v16
	ds_read_u16 v16, v29 offset:4212
	ds_read_u16 v89, v29 offset:4374
	;; [unrolled: 1-line block ×4, first 2 shown]
	s_waitcnt vmcnt(4)
	v_mul_f16_sdwa v62, v91, v19 dst_sel:DWORD dst_unused:UNUSED_PAD src0_sel:DWORD src1_sel:WORD_1
	s_waitcnt lgkmcnt(6)
	v_mul_f16_sdwa v96, v85, v20 dst_sel:DWORD dst_unused:UNUSED_PAD src0_sel:DWORD src1_sel:WORD_1
	v_mul_f16_sdwa v97, v65, v20 dst_sel:DWORD dst_unused:UNUSED_PAD src0_sel:DWORD src1_sel:WORD_1
	ds_read_u16 v99, v29 offset:2754
	v_mul_f16_sdwa v87, v56, v19 dst_sel:DWORD dst_unused:UNUSED_PAD src0_sel:DWORD src1_sel:WORD_1
	v_fma_f16 v56, v56, v19, -v62
	s_waitcnt vmcnt(3)
	v_mul_f16_sdwa v62, v92, v17 dst_sel:DWORD dst_unused:UNUSED_PAD src0_sel:DWORD src1_sel:WORD_1
	v_fma_f16 v65, v65, v20, -v96
	v_fmac_f16_e32 v97, v85, v20
	ds_read_u16 v20, v29 offset:2916
	v_mul_f16_sdwa v85, v55, v17 dst_sel:DWORD dst_unused:UNUSED_PAD src0_sel:DWORD src1_sel:WORD_1
	v_fma_f16 v55, v55, v17, -v62
	v_mul_f16_sdwa v62, v63, v18 dst_sel:DWORD dst_unused:UNUSED_PAD src0_sel:DWORD src1_sel:WORD_1
	v_fmac_f16_e32 v87, v91, v19
	v_mul_f16_sdwa v91, v57, v25 dst_sel:DWORD dst_unused:UNUSED_PAD src0_sel:DWORD src1_sel:WORD_1
	s_waitcnt lgkmcnt(7)
	v_mul_f16_sdwa v19, v15, v18 dst_sel:DWORD dst_unused:UNUSED_PAD src0_sel:DWORD src1_sel:WORD_1
	v_fmac_f16_e32 v85, v92, v17
	v_fmac_f16_e32 v62, v15, v18
	s_waitcnt lgkmcnt(5)
	v_mul_f16_sdwa v15, v16, v26 dst_sel:DWORD dst_unused:UNUSED_PAD src0_sel:DWORD src1_sel:WORD_1
	v_mul_f16_sdwa v17, v14, v25 dst_sel:DWORD dst_unused:UNUSED_PAD src0_sel:DWORD src1_sel:WORD_1
	v_fmac_f16_e32 v91, v14, v25
	v_mul_f16_sdwa v92, v60, v26 dst_sel:DWORD dst_unused:UNUSED_PAD src0_sel:DWORD src1_sel:WORD_1
	s_waitcnt vmcnt(2)
	v_mul_f16_sdwa v102, v58, v28 dst_sel:DWORD dst_unused:UNUSED_PAD src0_sel:DWORD src1_sel:WORD_1
	v_fma_f16 v60, v60, v26, -v15
	s_waitcnt lgkmcnt(4)
	v_mul_f16_sdwa v15, v89, v28 dst_sel:DWORD dst_unused:UNUSED_PAD src0_sel:DWORD src1_sel:WORD_1
	ds_read_u16 v104, v29
	s_waitcnt lgkmcnt(2)
	v_mul_f16_sdwa v14, v99, v27 dst_sel:DWORD dst_unused:UNUSED_PAD src0_sel:DWORD src1_sel:WORD_1
	v_fmac_f16_e32 v102, v89, v28
	v_fmac_f16_e32 v92, v16, v26
	v_fma_f16 v58, v58, v28, -v15
	v_add_f16_e32 v16, v49, v68
	v_fma_f16 v101, v53, v27, -v14
	v_fma_f16 v57, v57, v25, -v17
	v_mul_f16_sdwa v96, v53, v27 dst_sel:DWORD dst_unused:UNUSED_PAD src0_sel:DWORD src1_sel:WORD_1
	v_fma_f16 v63, v63, v18, -v19
	s_waitcnt vmcnt(1) lgkmcnt(1)
	v_mul_f16_sdwa v14, v20, v23 dst_sel:DWORD dst_unused:UNUSED_PAD src0_sel:DWORD src1_sel:WORD_1
	v_mul_f16_sdwa v15, v90, v24 dst_sel:DWORD dst_unused:UNUSED_PAD src0_sel:DWORD src1_sel:WORD_1
	;; [unrolled: 1-line block ×3, first 2 shown]
	v_fmac_f16_e32 v96, v99, v27
	v_mul_f16_sdwa v99, v51, v23 dst_sel:DWORD dst_unused:UNUSED_PAD src0_sel:DWORD src1_sel:WORD_1
	v_fma_f16 v103, v51, v23, -v14
	v_fma_f16 v54, v54, v24, -v15
	s_waitcnt vmcnt(0)
	v_mul_f16_sdwa v14, v98, v21 dst_sel:DWORD dst_unused:UNUSED_PAD src0_sel:DWORD src1_sel:WORD_1
	v_fmac_f16_e32 v89, v90, v24
	v_mul_f16_sdwa v90, v50, v21 dst_sel:DWORD dst_unused:UNUSED_PAD src0_sel:DWORD src1_sel:WORD_1
	v_mul_f16_sdwa v15, v94, v22 dst_sel:DWORD dst_unused:UNUSED_PAD src0_sel:DWORD src1_sel:WORD_1
	;; [unrolled: 1-line block ×3, first 2 shown]
	v_fma_f16 v106, v50, v21, -v14
	v_cndmask_b32_e64 v14, 0, 0x21c, s0
	v_fmac_f16_e32 v90, v98, v21
	v_fma_f16 v98, v52, v22, -v15
	v_add_f16_e32 v15, v68, v9
	v_fmac_f16_e32 v105, v94, v22
	v_add3_u32 v8, 0, v14, v8
	v_add_f16_e32 v14, v95, v100
	ds_read_u16 v94, v29 offset:162
	ds_read_u16 v107, v29 offset:324
	;; [unrolled: 1-line block ×7, first 2 shown]
	v_fmac_f16_e32 v49, -0.5, v15
	v_sub_f16_e32 v15, v95, v100
	s_waitcnt lgkmcnt(7)
	v_add_f16_e32 v17, v104, v95
	v_fmac_f16_e32 v104, -0.5, v14
	v_add_f16_e32 v14, v16, v9
	v_sub_f16_e32 v9, v68, v9
	v_fmamk_f16 v16, v15, 0x3aee, v49
	v_fmac_f16_e32 v49, 0xbaee, v15
	v_add_f16_e32 v15, v10, v13
	v_add_f16_e32 v68, v17, v100
	v_fmamk_f16 v95, v9, 0xbaee, v104
	v_fmac_f16_e32 v104, 0x3aee, v9
	v_add_f16_e32 v9, v69, v86
	v_add_f16_e32 v17, v48, v10
	v_fmac_f16_e32 v48, -0.5, v15
	v_sub_f16_e32 v15, v69, v86
	v_fmac_f16_e32 v99, v20, v23
	s_waitcnt lgkmcnt(6)
	v_add_f16_e32 v18, v94, v69
	v_fmac_f16_e32 v94, -0.5, v9
	v_add_f16_e32 v9, v17, v13
	v_sub_f16_e32 v10, v10, v13
	v_fmamk_f16 v13, v15, 0x3aee, v48
	v_fmac_f16_e32 v48, 0xbaee, v15
	v_add_f16_e32 v15, v66, v11
	v_add_f16_e32 v17, v12, v59
	v_add_f16_e32 v20, v56, v65
	v_add_f16_e32 v69, v18, v86
	v_add_f16_e32 v18, v47, v66
	v_fmac_f16_e32 v47, -0.5, v15
	v_sub_f16_e32 v15, v64, v67
	v_add_f16_e32 v19, v46, v12
	v_fmac_f16_e32 v46, -0.5, v17
	v_sub_f16_e32 v17, v88, v61
	v_add_f16_e32 v21, v55, v63
	v_add_f16_e32 v22, v45, v56
	v_fmac_f16_e32 v45, -0.5, v20
	v_sub_f16_e32 v20, v87, v97
	v_fmamk_f16 v86, v10, 0xbaee, v94
	v_fmac_f16_e32 v94, 0x3aee, v10
	v_fmamk_f16 v10, v15, 0x3aee, v47
	v_fmac_f16_e32 v47, 0xbaee, v15
	v_fmamk_f16 v15, v17, 0x3aee, v46
	v_add_f16_e32 v23, v44, v55
	v_fmac_f16_e32 v44, -0.5, v21
	v_sub_f16_e32 v21, v85, v62
	v_fmac_f16_e32 v46, 0xbaee, v17
	v_fmamk_f16 v17, v20, 0x3aee, v45
	v_fmac_f16_e32 v45, 0xbaee, v20
	v_add_f16_e32 v20, v57, v60
	v_add_f16_e32 v26, v103, v54
	v_fmamk_f16 v24, v21, 0x3aee, v44
	v_fmac_f16_e32 v44, 0xbaee, v21
	v_add_f16_e32 v21, v43, v57
	v_add_f16_e32 v25, v101, v58
	v_fmac_f16_e32 v43, -0.5, v20
	v_sub_f16_e32 v20, v91, v92
	v_add_f16_e32 v28, v41, v103
	v_fmac_f16_e32 v41, -0.5, v26
	v_add_f16_e32 v26, v106, v98
	v_add_f16_e32 v27, v40, v101
	v_fmac_f16_e32 v40, -0.5, v25
	v_sub_f16_e32 v25, v96, v102
	v_sub_f16_e32 v50, v99, v89
	v_fmamk_f16 v51, v20, 0x3aee, v43
	v_fmac_f16_e32 v43, 0xbaee, v20
	v_add_f16_e32 v20, v42, v106
	v_fmac_f16_e32 v42, -0.5, v26
	v_sub_f16_e32 v26, v90, v105
	v_fmamk_f16 v52, v25, 0x3aee, v40
	v_fmac_f16_e32 v40, 0xbaee, v25
	v_fmamk_f16 v25, v50, 0x3aee, v41
	v_fmac_f16_e32 v41, 0xbaee, v50
	;; [unrolled: 2-line block ×3, first 2 shown]
	v_mov_b32_e32 v26, 0x21c
	v_lshlrev_b32_sdwa v53, v39, v72 dst_sel:DWORD dst_unused:UNUSED_PAD src0_sel:DWORD src1_sel:BYTE_0
	ds_read_u16 v100, v29 offset:1296
	s_waitcnt lgkmcnt(0)
	s_barrier
	v_mul_u32_u24_sdwa v26, v70, v26 dst_sel:DWORD dst_unused:UNUSED_PAD src0_sel:WORD_0 src1_sel:DWORD
	buffer_gl0_inv
	ds_write_b16 v29, v14
	ds_write_b16 v29, v16 offset:180
	ds_write_b16 v29, v49 offset:360
	ds_write_b16 v8, v9
	v_add_f16_e32 v14, v18, v11
	v_lshlrev_b32_sdwa v16, v39, v74 dst_sel:DWORD dst_unused:UNUSED_PAD src0_sel:DWORD src1_sel:WORD_0
	v_mul_u32_u24_e32 v18, 0x21c, v71
	v_add3_u32 v9, 0, v26, v53
	ds_write_b16 v8, v13 offset:180
	ds_write_b16 v8, v48 offset:360
	ds_write_b16 v9, v14
	ds_write_b16 v9, v10 offset:180
	v_add3_u32 v10, 0, v18, v16
	v_add_f16_e32 v13, v19, v59
	v_lshlrev_b32_sdwa v14, v39, v76 dst_sel:DWORD dst_unused:UNUSED_PAD src0_sel:DWORD src1_sel:WORD_0
	v_mul_u32_u24_e32 v16, 0x21c, v73
	v_lshlrev_b32_sdwa v18, v39, v80 dst_sel:DWORD dst_unused:UNUSED_PAD src0_sel:DWORD src1_sel:WORD_0
	v_mul_u32_u24_e32 v19, 0x21c, v75
	ds_write_b16 v9, v47 offset:360
	ds_write_b16 v10, v13
	v_add3_u32 v13, 0, v16, v14
	v_add_f16_e32 v14, v22, v65
	ds_write_b16 v10, v15 offset:180
	v_add3_u32 v48, 0, v19, v18
	v_add_f16_e32 v15, v23, v63
	ds_write_b16 v10, v46 offset:360
	ds_write_b16 v13, v14
	ds_write_b16 v13, v17 offset:180
	ds_write_b16 v13, v45 offset:360
	ds_write_b16 v48, v15
	v_lshlrev_b32_sdwa v14, v39, v79 dst_sel:DWORD dst_unused:UNUSED_PAD src0_sel:DWORD src1_sel:WORD_0
	v_mul_u32_u24_e32 v15, 0x21c, v78
	v_lshlrev_b32_sdwa v16, v39, v84 dst_sel:DWORD dst_unused:UNUSED_PAD src0_sel:DWORD src1_sel:WORD_0
	v_mul_u32_u24_e32 v17, 0x21c, v77
	ds_write_b16 v48, v24 offset:180
	ds_write_b16 v48, v44 offset:360
	v_lshl_add_u32 v73, v82, 1, 0
	v_add3_u32 v70, 0, v15, v14
	v_add_f16_e32 v14, v21, v60
	v_add3_u32 v71, 0, v17, v16
	v_lshlrev_b32_sdwa v16, v39, v83 dst_sel:DWORD dst_unused:UNUSED_PAD src0_sel:DWORD src1_sel:WORD_0
	v_mul_u32_u24_e32 v17, 0x21c, v81
	v_add_f16_e32 v15, v27, v58
	ds_write_b16 v70, v14
	ds_write_b16 v70, v51 offset:180
	ds_write_b16 v70, v43 offset:360
	ds_write_b16 v71, v15
	v_add_f16_e32 v14, v28, v54
	v_add3_u32 v72, 0, v17, v16
	v_add_f16_e32 v15, v20, v98
	ds_write_b16 v71, v52 offset:180
	ds_write_b16 v71, v40 offset:360
	ds_write_b16 v72, v14
	ds_write_b16 v72, v25 offset:180
	ds_write_b16 v72, v41 offset:360
	;; [unrolled: 1-line block ×5, first 2 shown]
	s_waitcnt lgkmcnt(0)
	s_barrier
	buffer_gl0_inv
	ds_read_u16 v47, v29 offset:3564
	ds_read_u16 v45, v29 offset:3726
	ds_read_u16 v51, v29 offset:1944
	ds_read_u16 v49, v29 offset:2106
	ds_read_u16 v44, v29 offset:2268
	ds_read_u16 v40, v29 offset:2430
	ds_read_u16 v23, v29
	ds_read_u16 v22, v29 offset:162
	ds_read_u16 v21, v29 offset:324
	;; [unrolled: 1-line block ×23, first 2 shown]
	s_waitcnt lgkmcnt(0)
	s_barrier
	buffer_gl0_inv
	ds_write_b16 v29, v68
	v_add_f16_e32 v68, v64, v67
	ds_write_b16 v29, v95 offset:180
	ds_write_b16 v29, v104 offset:360
	v_add_f16_e32 v64, v107, v64
	ds_write_b16 v8, v69
	v_sub_f16_e32 v11, v66, v11
	v_fmac_f16_e32 v107, -0.5, v68
	ds_write_b16 v8, v86 offset:180
	ds_write_b16 v8, v94 offset:360
	v_add_f16_e32 v8, v88, v61
	v_add_f16_e32 v64, v64, v67
	v_fmamk_f16 v66, v11, 0xbaee, v107
	v_fmac_f16_e32 v107, 0x3aee, v11
	v_add_f16_e32 v11, v108, v88
	v_fmac_f16_e32 v108, -0.5, v8
	v_sub_f16_e32 v8, v12, v59
	ds_write_b16 v9, v64
	ds_write_b16 v9, v66 offset:180
	ds_write_b16 v9, v107 offset:360
	v_add_f16_e32 v9, v11, v61
	v_add_f16_e32 v11, v87, v97
	v_fmamk_f16 v12, v8, 0xbaee, v108
	v_fmac_f16_e32 v108, 0x3aee, v8
	v_add_f16_e32 v8, v109, v87
	ds_write_b16 v10, v9
	v_fmac_f16_e32 v109, -0.5, v11
	v_sub_f16_e32 v9, v56, v65
	ds_write_b16 v10, v12 offset:180
	v_add_f16_e32 v8, v8, v97
	ds_write_b16 v10, v108 offset:360
	v_add_f16_e32 v10, v85, v62
	v_fmamk_f16 v11, v9, 0xbaee, v109
	v_fmac_f16_e32 v109, 0x3aee, v9
	ds_write_b16 v13, v8
	v_add_f16_e32 v8, v110, v85
	v_fmac_f16_e32 v110, -0.5, v10
	v_sub_f16_e32 v9, v55, v63
	ds_write_b16 v13, v11 offset:180
	ds_write_b16 v13, v109 offset:360
	v_add_f16_e32 v10, v91, v92
	v_add_f16_e32 v8, v8, v62
	;; [unrolled: 1-line block ×3, first 2 shown]
	v_fmamk_f16 v11, v9, 0xbaee, v110
	v_fmac_f16_e32 v110, 0x3aee, v9
	v_add_f16_e32 v9, v111, v91
	ds_write_b16 v48, v8
	v_fmac_f16_e32 v111, -0.5, v10
	v_sub_f16_e32 v8, v57, v60
	v_add_f16_e32 v10, v96, v102
	v_add_f16_e32 v9, v9, v92
	ds_write_b16 v48, v11 offset:180
	ds_write_b16 v48, v110 offset:360
	v_fmamk_f16 v11, v8, 0xbaee, v111
	v_fmac_f16_e32 v111, 0x3aee, v8
	ds_write_b16 v70, v9
	v_add_f16_e32 v8, v112, v96
	v_fmac_f16_e32 v112, -0.5, v10
	v_sub_f16_e32 v9, v101, v58
	v_add_f16_e32 v10, v99, v89
	ds_write_b16 v70, v11 offset:180
	ds_write_b16 v70, v111 offset:360
	v_add_f16_e32 v8, v8, v102
	v_add_f16_e32 v13, v93, v90
	v_fmamk_f16 v11, v9, 0xbaee, v112
	v_fmac_f16_e32 v112, 0x3aee, v9
	v_add_f16_e32 v9, v90, v105
	v_fmac_f16_e32 v100, -0.5, v10
	v_sub_f16_e32 v10, v103, v54
	v_add_f16_e32 v12, v12, v89
	v_cmp_gt_u32_e64 s0, 27, v0
	v_fmac_f16_e32 v93, -0.5, v9
	v_sub_f16_e32 v9, v106, v98
	v_fmamk_f16 v48, v10, 0xbaee, v100
	v_fmac_f16_e32 v100, 0x3aee, v10
	v_add_f16_e32 v10, v13, v105
	v_add_nc_u32_e32 v60, 0x6c, v4
	v_fmamk_f16 v13, v9, 0xbaee, v93
	v_fmac_f16_e32 v93, 0x3aee, v9
	ds_write_b16 v71, v8
	ds_write_b16 v71, v11 offset:180
	ds_write_b16 v71, v112 offset:360
	ds_write_b16 v72, v12
	ds_write_b16 v72, v48 offset:180
	ds_write_b16 v72, v100 offset:360
	;; [unrolled: 1-line block ×5, first 2 shown]
	v_lshlrev_b32_e32 v8, 1, v38
	v_mov_b32_e32 v9, v5
	v_subrev_nc_u32_e32 v10, 27, v0
	v_lshlrev_b32_e32 v12, 1, v37
	v_mov_b32_e32 v13, v5
	v_mov_b32_e32 v61, v5
	v_lshlrev_b64 v[8:9], 2, v[8:9]
	v_cndmask_b32_e64 v37, v10, v1, s0
	v_mov_b32_e32 v48, 0x795d
	v_add_nc_u32_e32 v62, 0x10e, v4
	v_lshlrev_b64 v[60:61], 2, v[60:61]
	v_mov_b32_e32 v63, v5
	v_add_co_u32 v10, s0, s8, v8
	v_add_co_ci_u32_e64 v11, s0, s9, v9, s0
	v_lshlrev_b64 v[8:9], 2, v[12:13]
	v_lshlrev_b32_e32 v12, 1, v37
	s_waitcnt lgkmcnt(0)
	s_barrier
	buffer_gl0_inv
	global_load_dwordx2 v[56:57], v[10:11], off offset:1040
	v_lshlrev_b64 v[37:38], 2, v[12:13]
	v_add_co_u32 v8, s0, s8, v8
	v_add_co_ci_u32_e64 v9, s0, s9, v9, s0
	v_mul_u32_u24_sdwa v66, v35, v48 dst_sel:DWORD dst_unused:UNUSED_PAD src0_sel:WORD_0 src1_sel:DWORD
	v_add_co_u32 v37, s0, s8, v37
	v_add_co_ci_u32_e64 v38, s0, s9, v38, s0
	s_clause 0x1
	global_load_dwordx2 v[54:55], v[6:7], off offset:1040
	global_load_dwordx2 v[58:59], v[8:9], off offset:1040
	v_mul_u32_u24_sdwa v13, v30, v48 dst_sel:DWORD dst_unused:UNUSED_PAD src0_sel:WORD_0 src1_sel:DWORD
	global_load_dwordx2 v[64:65], v[37:38], off offset:1040
	v_add_co_u32 v37, s0, s8, v60
	v_add_co_ci_u32_e64 v38, s0, s9, v61, s0
	v_lshlrev_b64 v[60:61], 2, v[62:63]
	v_lshrrev_b32_e32 v62, 23, v66
	v_lshrrev_b32_e32 v13, 23, v13
	global_load_dwordx2 v[67:68], v[37:38], off offset:1040
	v_add_nc_u32_e32 v4, 0, v4
	v_add_co_u32 v37, s0, s8, v60
	v_add_co_ci_u32_e64 v38, s0, s9, v61, s0
	v_mul_u32_u24_sdwa v60, v32, v48 dst_sel:DWORD dst_unused:UNUSED_PAD src0_sel:WORD_0 src1_sel:DWORD
	v_mul_lo_u16 v66, 0x10e, v62
	v_mul_lo_u16 v63, 0x10e, v13
	global_load_dwordx2 v[61:62], v[37:38], off offset:1040
	v_mul_u32_u24_sdwa v37, v31, v48 dst_sel:DWORD dst_unused:UNUSED_PAD src0_sel:WORD_0 src1_sel:DWORD
	v_lshrrev_b32_e32 v38, 23, v60
	v_sub_nc_u16 v48, v35, v66
	v_sub_nc_u16 v81, v30, v63
	v_cmp_lt_u32_e64 s0, 26, v0
	v_lshrrev_b32_e32 v37, 23, v37
	v_mul_lo_u16 v60, 0x10e, v38
	v_and_b32_e32 v38, 0xffff, v48
	v_lshlrev_b32_sdwa v36, v36, v81 dst_sel:DWORD dst_unused:UNUSED_PAD src0_sel:DWORD src1_sel:WORD_0
	v_mul_u32_u24_e32 v13, 0x654, v13
	v_lshlrev_b32_e32 v48, 3, v38
	global_load_dwordx2 v[71:72], v36, s[8:9] offset:1040
	v_lshl_add_u32 v98, v38, 1, 0
	global_load_dwordx2 v[73:74], v48, s[8:9] offset:1040
	v_mul_lo_u16 v36, 0x10e, v37
	v_sub_nc_u16 v37, v32, v60
	v_sub_nc_u16 v36, v31, v36
	v_and_b32_e32 v37, 0xffff, v37
	v_and_b32_e32 v36, 0xffff, v36
	v_lshlrev_b32_e32 v48, 3, v37
	v_lshlrev_b32_e32 v60, 3, v36
	s_clause 0x1
	global_load_dwordx2 v[75:76], v48, s[8:9] offset:1040
	global_load_dwordx2 v[77:78], v60, s[8:9] offset:1040
	ds_read_u16 v60, v29 offset:1620
	ds_read_u16 v63, v29 offset:3240
	;; [unrolled: 1-line block ×12, first 2 shown]
	s_waitcnt vmcnt(9) lgkmcnt(9)
	v_mul_f16_sdwa v92, v66, v56 dst_sel:DWORD dst_unused:UNUSED_PAD src0_sel:DWORD src1_sel:WORD_1
	s_waitcnt vmcnt(8)
	v_mul_f16_sdwa v85, v60, v54 dst_sel:DWORD dst_unused:UNUSED_PAD src0_sel:DWORD src1_sel:WORD_1
	v_mul_f16_sdwa v86, v79, v54 dst_sel:DWORD dst_unused:UNUSED_PAD src0_sel:DWORD src1_sel:WORD_1
	;; [unrolled: 1-line block ×4, first 2 shown]
	s_waitcnt vmcnt(7)
	v_mul_f16_sdwa v93, v51, v58 dst_sel:DWORD dst_unused:UNUSED_PAD src0_sel:DWORD src1_sel:WORD_1
	v_fma_f16 v79, v79, v54, -v85
	v_fmac_f16_e32 v86, v60, v54
	v_fma_f16 v80, v80, v55, -v90
	v_fma_f16 v85, v53, v56, -v92
	v_mul_f16_sdwa v90, v53, v56 dst_sel:DWORD dst_unused:UNUSED_PAD src0_sel:DWORD src1_sel:WORD_1
	s_waitcnt lgkmcnt(8)
	v_mul_f16_sdwa v53, v69, v57 dst_sel:DWORD dst_unused:UNUSED_PAD src0_sel:DWORD src1_sel:WORD_1
	s_waitcnt lgkmcnt(7)
	v_mul_f16_sdwa v54, v70, v58 dst_sel:DWORD dst_unused:UNUSED_PAD src0_sel:DWORD src1_sel:WORD_1
	v_mul_f16_sdwa v92, v52, v57 dst_sel:DWORD dst_unused:UNUSED_PAD src0_sel:DWORD src1_sel:WORD_1
	s_waitcnt vmcnt(6)
	v_mul_f16_sdwa v97, v49, v64 dst_sel:DWORD dst_unused:UNUSED_PAD src0_sel:DWORD src1_sel:WORD_1
	v_fmac_f16_e32 v91, v63, v55
	v_fma_f16 v94, v52, v57, -v53
	v_fma_f16 v95, v51, v58, -v54
	s_waitcnt lgkmcnt(2)
	v_mul_f16_sdwa v51, v87, v59 dst_sel:DWORD dst_unused:UNUSED_PAD src0_sel:DWORD src1_sel:WORD_1
	ds_read_u16 v52, v29 offset:3888
	s_waitcnt lgkmcnt(2)
	v_mul_f16_sdwa v54, v88, v65 dst_sel:DWORD dst_unused:UNUSED_PAD src0_sel:DWORD src1_sel:WORD_1
	v_fmac_f16_e32 v90, v66, v56
	v_mul_f16_sdwa v96, v47, v59 dst_sel:DWORD dst_unused:UNUSED_PAD src0_sel:DWORD src1_sel:WORD_1
	v_fma_f16 v47, v47, v59, -v51
	ds_read_u16 v51, v29 offset:4050
	ds_read_u16 v56, v29 offset:4212
	;; [unrolled: 1-line block ×3, first 2 shown]
	v_mul_f16_sdwa v53, v82, v64 dst_sel:DWORD dst_unused:UNUSED_PAD src0_sel:DWORD src1_sel:WORD_1
	v_fmac_f16_e32 v97, v82, v64
	v_fma_f16 v82, v45, v65, -v54
	v_mul_f16_sdwa v45, v45, v65 dst_sel:DWORD dst_unused:UNUSED_PAD src0_sel:DWORD src1_sel:WORD_1
	s_waitcnt vmcnt(5)
	v_mul_f16_sdwa v54, v83, v67 dst_sel:DWORD dst_unused:UNUSED_PAD src0_sel:DWORD src1_sel:WORD_1
	v_fmac_f16_e32 v92, v69, v57
	v_fmac_f16_e32 v96, v87, v59
	v_fma_f16 v49, v49, v64, -v53
	v_mul_f16_sdwa v53, v44, v67 dst_sel:DWORD dst_unused:UNUSED_PAD src0_sel:DWORD src1_sel:WORD_1
	v_fmac_f16_e32 v45, v88, v65
	v_fma_f16 v57, v44, v67, -v54
	ds_read_u16 v44, v29 offset:4374
	ds_read_u16 v87, v29 offset:4536
	;; [unrolled: 1-line block ×4, first 2 shown]
	v_fmac_f16_e32 v93, v70, v58
	s_waitcnt lgkmcnt(7)
	v_mul_f16_sdwa v54, v52, v68 dst_sel:DWORD dst_unused:UNUSED_PAD src0_sel:DWORD src1_sel:WORD_1
	v_mul_f16_sdwa v63, v50, v68 dst_sel:DWORD dst_unused:UNUSED_PAD src0_sel:DWORD src1_sel:WORD_1
	s_waitcnt vmcnt(4)
	v_mul_f16_sdwa v58, v84, v61 dst_sel:DWORD dst_unused:UNUSED_PAD src0_sel:DWORD src1_sel:WORD_1
	v_fmac_f16_e32 v53, v83, v67
	ds_read_u16 v83, v29 offset:2916
	v_mul_f16_sdwa v66, v40, v61 dst_sel:DWORD dst_unused:UNUSED_PAD src0_sel:DWORD src1_sel:WORD_1
	v_fma_f16 v69, v50, v68, -v54
	v_fmac_f16_e32 v63, v52, v68
	v_fma_f16 v67, v40, v61, -v58
	s_waitcnt lgkmcnt(7)
	v_mul_f16_sdwa v40, v51, v62 dst_sel:DWORD dst_unused:UNUSED_PAD src0_sel:DWORD src1_sel:WORD_1
	v_mul_f16_sdwa v68, v46, v62 dst_sel:DWORD dst_unused:UNUSED_PAD src0_sel:DWORD src1_sel:WORD_1
	s_waitcnt vmcnt(3) lgkmcnt(5)
	v_mul_f16_sdwa v50, v55, v71 dst_sel:DWORD dst_unused:UNUSED_PAD src0_sel:DWORD src1_sel:WORD_1
	v_fmac_f16_e32 v66, v84, v61
	v_mul_f16_sdwa v61, v41, v71 dst_sel:DWORD dst_unused:UNUSED_PAD src0_sel:DWORD src1_sel:WORD_1
	v_mul_f16_sdwa v52, v56, v72 dst_sel:DWORD dst_unused:UNUSED_PAD src0_sel:DWORD src1_sel:WORD_1
	v_fma_f16 v70, v46, v62, -v40
	v_fmac_f16_e32 v68, v51, v62
	v_fma_f16 v62, v41, v71, -v50
	v_mul_f16_sdwa v64, v43, v72 dst_sel:DWORD dst_unused:UNUSED_PAD src0_sel:DWORD src1_sel:WORD_1
	s_waitcnt vmcnt(2) lgkmcnt(4)
	v_mul_f16_sdwa v41, v44, v74 dst_sel:DWORD dst_unused:UNUSED_PAD src0_sel:DWORD src1_sel:WORD_1
	v_fma_f16 v65, v43, v72, -v52
	v_fmac_f16_e32 v61, v55, v71
	v_mul_f16_sdwa v54, v28, v73 dst_sel:DWORD dst_unused:UNUSED_PAD src0_sel:DWORD src1_sel:WORD_1
	v_fmac_f16_e32 v64, v56, v72
	v_fma_f16 v60, v42, v74, -v41
	s_waitcnt vmcnt(0)
	v_mul_f16_sdwa v41, v89, v77 dst_sel:DWORD dst_unused:UNUSED_PAD src0_sel:DWORD src1_sel:WORD_1
	ds_read_u16 v72, v29
	s_waitcnt lgkmcnt(2)
	v_mul_f16_sdwa v40, v59, v73 dst_sel:DWORD dst_unused:UNUSED_PAD src0_sel:DWORD src1_sel:WORD_1
	v_mul_f16_sdwa v52, v42, v74 dst_sel:DWORD dst_unused:UNUSED_PAD src0_sel:DWORD src1_sel:WORD_1
	v_mul_f16_sdwa v71, v25, v77 dst_sel:DWORD dst_unused:UNUSED_PAD src0_sel:DWORD src1_sel:WORD_1
	v_fma_f16 v56, v25, v77, -v41
	v_mul_f16_sdwa v25, v88, v78 dst_sel:DWORD dst_unused:UNUSED_PAD src0_sel:DWORD src1_sel:WORD_1
	v_fma_f16 v58, v28, v73, -v40
	s_waitcnt lgkmcnt(1)
	v_mul_f16_sdwa v28, v83, v75 dst_sel:DWORD dst_unused:UNUSED_PAD src0_sel:DWORD src1_sel:WORD_1
	v_fmac_f16_e32 v54, v59, v73
	v_fmac_f16_e32 v52, v44, v74
	v_mul_f16_sdwa v51, v26, v75 dst_sel:DWORD dst_unused:UNUSED_PAD src0_sel:DWORD src1_sel:WORD_1
	v_mul_f16_sdwa v73, v24, v78 dst_sel:DWORD dst_unused:UNUSED_PAD src0_sel:DWORD src1_sel:WORD_1
	v_fma_f16 v55, v26, v75, -v28
	v_cndmask_b32_e64 v26, 0, 0x654, s0
	v_fma_f16 v74, v24, v78, -v25
	v_add_f16_e32 v24, v79, v80
	v_mul_f16_sdwa v40, v87, v76 dst_sel:DWORD dst_unused:UNUSED_PAD src0_sel:DWORD src1_sel:WORD_1
	v_mul_f16_sdwa v50, v27, v76 dst_sel:DWORD dst_unused:UNUSED_PAD src0_sel:DWORD src1_sel:WORD_1
	v_fmac_f16_e32 v51, v83, v75
	v_add3_u32 v75, 0, v26, v12
	v_add_f16_e32 v25, v23, v79
	v_fmac_f16_e32 v23, -0.5, v24
	v_add_f16_e32 v24, v86, v91
	v_sub_f16_e32 v26, v86, v91
	v_fma_f16 v59, v27, v76, -v40
	v_fmac_f16_e32 v50, v87, v76
	v_fmac_f16_e32 v71, v89, v77
	;; [unrolled: 1-line block ×3, first 2 shown]
	v_lshlrev_b32_sdwa v12, v39, v81 dst_sel:DWORD dst_unused:UNUSED_PAD src0_sel:DWORD src1_sel:WORD_0
	ds_read_u16 v76, v29 offset:162
	ds_read_u16 v77, v29 offset:324
	;; [unrolled: 1-line block ×7, first 2 shown]
	s_waitcnt lgkmcnt(7)
	v_add_f16_e32 v27, v72, v86
	v_fmac_f16_e32 v72, -0.5, v24
	v_add_f16_e32 v24, v25, v80
	v_sub_f16_e32 v25, v79, v80
	v_fmamk_f16 v28, v26, 0x3aee, v23
	v_fmac_f16_e32 v23, 0xbaee, v26
	v_add_f16_e32 v26, v85, v94
	v_add_f16_e32 v79, v27, v91
	v_fmamk_f16 v80, v25, 0xbaee, v72
	v_fmac_f16_e32 v72, 0x3aee, v25
	v_add_f16_e32 v25, v90, v92
	v_add_f16_e32 v27, v22, v85
	v_fmac_f16_e32 v22, -0.5, v26
	v_sub_f16_e32 v26, v90, v92
	s_waitcnt lgkmcnt(6)
	v_add_f16_e32 v39, v76, v90
	v_fmac_f16_e32 v76, -0.5, v25
	v_add_f16_e32 v25, v27, v94
	v_sub_f16_e32 v27, v85, v94
	v_fmamk_f16 v40, v26, 0x3aee, v22
	v_fmac_f16_e32 v22, 0xbaee, v26
	v_add_f16_e32 v26, v95, v47
	v_add_f16_e32 v85, v39, v92
	v_fmamk_f16 v86, v27, 0xbaee, v76
	v_fmac_f16_e32 v76, 0x3aee, v27
	v_add_f16_e32 v27, v93, v96
	v_add_f16_e32 v39, v21, v95
	v_fmac_f16_e32 v21, -0.5, v26
	v_sub_f16_e32 v26, v93, v96
	s_waitcnt lgkmcnt(5)
	v_add_f16_e32 v41, v77, v93
	v_fmac_f16_e32 v77, -0.5, v27
	v_add_f16_e32 v27, v39, v47
	v_sub_f16_e32 v39, v95, v47
	v_fmamk_f16 v42, v26, 0x3aee, v21
	v_fmac_f16_e32 v21, 0xbaee, v26
	v_add_f16_e32 v26, v49, v82
	v_add_f16_e32 v88, v41, v96
	v_fmamk_f16 v89, v39, 0xbaee, v77
	v_fmac_f16_e32 v77, 0x3aee, v39
	v_add_f16_e32 v39, v97, v45
	v_add_f16_e32 v41, v20, v49
	v_fmac_f16_e32 v20, -0.5, v26
	s_waitcnt lgkmcnt(4)
	v_add_f16_e32 v26, v78, v97
	v_sub_f16_e32 v43, v97, v45
	v_fmac_f16_e32 v78, -0.5, v39
	v_add_f16_e32 v39, v41, v82
	v_add_f16_e32 v41, v57, v69
	v_sub_f16_e32 v44, v49, v82
	v_add_f16_e32 v82, v26, v45
	v_add_f16_e32 v26, v67, v70
	v_fmamk_f16 v46, v43, 0x3aee, v20
	v_fmac_f16_e32 v20, 0xbaee, v43
	v_add_f16_e32 v43, v19, v57
	v_fmac_f16_e32 v19, -0.5, v41
	v_sub_f16_e32 v41, v53, v63
	v_add_f16_e32 v45, v62, v65
	v_add_f16_e32 v47, v18, v67
	v_fmac_f16_e32 v18, -0.5, v26
	v_sub_f16_e32 v26, v66, v68
	v_fmamk_f16 v90, v44, 0xbaee, v78
	v_fmac_f16_e32 v78, 0x3aee, v44
	v_fmamk_f16 v44, v41, 0x3aee, v19
	v_add_f16_e32 v49, v17, v62
	v_fmac_f16_e32 v17, -0.5, v45
	v_sub_f16_e32 v45, v61, v64
	v_fmac_f16_e32 v19, 0xbaee, v41
	v_fmamk_f16 v41, v26, 0x3aee, v18
	v_fmac_f16_e32 v18, 0xbaee, v26
	v_add_f16_e32 v26, v58, v60
	v_add_f16_e32 v92, v55, v59
	v_add_f16_e32 v93, v56, v74
	v_fmamk_f16 v91, v45, 0x3aee, v17
	v_fmac_f16_e32 v17, 0xbaee, v45
	v_add_f16_e32 v45, v14, v58
	v_fmac_f16_e32 v14, -0.5, v26
	v_sub_f16_e32 v26, v54, v52
	v_add_f16_e32 v94, v15, v55
	v_fmac_f16_e32 v15, -0.5, v92
	v_sub_f16_e32 v92, v51, v50
	;; [unrolled: 3-line block ×3, first 2 shown]
	v_fmamk_f16 v96, v26, 0x3aee, v14
	v_fmac_f16_e32 v14, 0xbaee, v26
	v_fmamk_f16 v26, v92, 0x3aee, v15
	v_fmac_f16_e32 v15, 0xbaee, v92
	;; [unrolled: 2-line block ×3, first 2 shown]
	ds_read_u16 v93, v29 offset:1296
	s_waitcnt lgkmcnt(0)
	s_barrier
	buffer_gl0_inv
	ds_write_b16 v29, v24
	ds_write_b16 v29, v28 offset:540
	ds_write_b16 v29, v23 offset:1080
	;; [unrolled: 1-line block ×8, first 2 shown]
	ds_write_b16 v75, v39
	v_add_f16_e32 v21, v43, v69
	v_add3_u32 v97, 0, v13, v12
	v_add_f16_e32 v12, v49, v65
	ds_write_b16 v75, v46 offset:540
	ds_write_b16 v75, v20 offset:1080
	v_add_f16_e32 v20, v47, v70
	v_add_f16_e32 v13, v45, v60
	ds_write_b16 v4, v21 offset:1728
	ds_write_b16 v4, v44 offset:2268
	;; [unrolled: 1-line block ×6, first 2 shown]
	ds_write_b16 v97, v12
	ds_write_b16 v97, v91 offset:540
	ds_write_b16 v97, v17 offset:1080
	;; [unrolled: 1-line block ×3, first 2 shown]
	v_add_f16_e32 v12, v94, v59
	v_lshl_add_u32 v91, v37, 1, 0
	v_add_f16_e32 v13, v95, v74
	v_lshl_add_u32 v94, v36, 1, 0
	ds_write_b16 v98, v96 offset:3780
	ds_write_b16 v98, v14 offset:4320
	;; [unrolled: 1-line block ×8, first 2 shown]
	s_waitcnt lgkmcnt(0)
	s_barrier
	buffer_gl0_inv
	ds_read_u16 v14, v29 offset:3564
	ds_read_u16 v16, v29 offset:3726
	;; [unrolled: 1-line block ×6, first 2 shown]
	ds_read_u16 v41, v29
	ds_read_u16 v42, v29 offset:162
	ds_read_u16 v12, v29 offset:324
	;; [unrolled: 1-line block ×23, first 2 shown]
	s_waitcnt lgkmcnt(0)
	s_barrier
	buffer_gl0_inv
	ds_write_b16 v29, v79
	ds_write_b16 v29, v80 offset:540
	ds_write_b16 v29, v72 offset:1080
	ds_write_b16 v29, v85 offset:162
	ds_write_b16 v29, v86 offset:702
	ds_write_b16 v29, v76 offset:1242
	ds_write_b16 v29, v88 offset:324
	ds_write_b16 v29, v89 offset:864
	ds_write_b16 v29, v77 offset:1404
	ds_write_b16 v75, v82
	v_add_f16_e32 v72, v53, v63
	v_add_f16_e32 v53, v81, v53
	ds_write_b16 v75, v90 offset:540
	ds_write_b16 v75, v78 offset:1080
	v_add_f16_e32 v75, v66, v68
	v_sub_f16_e32 v57, v57, v69
	v_fmac_f16_e32 v81, -0.5, v72
	v_add_f16_e32 v53, v53, v63
	v_add_f16_e32 v66, v83, v66
	v_fmac_f16_e32 v83, -0.5, v75
	v_sub_f16_e32 v67, v67, v70
	v_fmamk_f16 v63, v57, 0xbaee, v81
	ds_write_b16 v4, v53 offset:1728
	v_add_f16_e32 v53, v61, v64
	v_fmac_f16_e32 v81, 0x3aee, v57
	v_add_f16_e32 v57, v66, v68
	v_fmamk_f16 v66, v67, 0xbaee, v83
	v_fmac_f16_e32 v83, 0x3aee, v67
	v_add_f16_e32 v61, v84, v61
	v_fmac_f16_e32 v84, -0.5, v53
	v_sub_f16_e32 v53, v62, v65
	ds_write_b16 v4, v63 offset:2268
	ds_write_b16 v4, v81 offset:2808
	;; [unrolled: 1-line block ×5, first 2 shown]
	v_add_f16_e32 v4, v54, v52
	v_add_f16_e32 v57, v61, v64
	v_fmamk_f16 v61, v53, 0xbaee, v84
	v_fmac_f16_e32 v84, 0x3aee, v53
	v_add_f16_e32 v53, v87, v54
	v_fmac_f16_e32 v87, -0.5, v4
	v_sub_f16_e32 v4, v58, v60
	ds_write_b16 v97, v57
	ds_write_b16 v97, v61 offset:540
	ds_write_b16 v97, v84 offset:1080
	v_add_f16_e32 v52, v53, v52
	v_add_f16_e32 v53, v51, v50
	v_fmamk_f16 v54, v4, 0xbaee, v87
	v_fmac_f16_e32 v87, 0x3aee, v4
	v_add_f16_e32 v4, v71, v73
	v_add_f16_e32 v51, v93, v51
	v_fmac_f16_e32 v93, -0.5, v53
	v_sub_f16_e32 v53, v55, v59
	v_add_f16_e32 v55, v48, v71
	v_fmac_f16_e32 v48, -0.5, v4
	v_sub_f16_e32 v4, v56, v74
	v_add_f16_e32 v50, v51, v50
	v_fmamk_f16 v51, v53, 0xbaee, v93
	v_fmac_f16_e32 v93, 0x3aee, v53
	v_add_f16_e32 v53, v55, v73
	v_fmamk_f16 v55, v4, 0xbaee, v48
	v_fmac_f16_e32 v48, 0x3aee, v4
	ds_write_b16 v98, v52 offset:3240
	ds_write_b16 v98, v54 offset:3780
	;; [unrolled: 1-line block ×9, first 2 shown]
	s_waitcnt lgkmcnt(0)
	s_barrier
	buffer_gl0_inv
	s_and_saveexec_b32 s0, vcc_lo
	s_cbranch_execz .LBB0_13
; %bb.12:
	v_lshlrev_b32_e32 v4, 1, v31
	v_add_co_u32 v10, vcc_lo, 0x800, v10
	v_add_co_ci_u32_e32 v11, vcc_lo, 0, v11, vcc_lo
	v_lshlrev_b64 v[50:51], 2, v[4:5]
	v_add_co_u32 v6, vcc_lo, 0x800, v6
	v_lshlrev_b32_e32 v4, 1, v32
	v_add_co_ci_u32_e32 v7, vcc_lo, 0, v7, vcc_lo
	v_add_co_u32 v48, vcc_lo, s8, v50
	v_add_co_ci_u32_e32 v51, vcc_lo, s9, v51, vcc_lo
	v_lshlrev_b64 v[52:53], 2, v[4:5]
	v_add_co_u32 v50, vcc_lo, 0x800, v48
	v_add_co_ci_u32_e32 v51, vcc_lo, 0, v51, vcc_lo
	s_clause 0x1
	global_load_dwordx2 v[10:11], v[10:11], off offset:1152
	global_load_dwordx2 v[6:7], v[6:7], off offset:1152
	v_add_co_u32 v4, vcc_lo, s8, v52
	v_add_co_ci_u32_e32 v48, vcc_lo, s9, v53, vcc_lo
	global_load_dwordx2 v[50:51], v[50:51], off offset:1152
	v_add_co_u32 v52, vcc_lo, 0x800, v4
	v_lshlrev_b32_e32 v4, 1, v35
	v_add_co_ci_u32_e32 v53, vcc_lo, 0, v48, vcc_lo
	v_lshlrev_b64 v[54:55], 2, v[4:5]
	global_load_dwordx2 v[52:53], v[52:53], off offset:1152
	v_add_co_u32 v4, vcc_lo, s8, v54
	v_add_co_ci_u32_e32 v35, vcc_lo, s9, v55, vcc_lo
	v_add_co_u32 v54, vcc_lo, 0x800, v4
	v_lshlrev_b32_e32 v4, 1, v30
	v_add_co_ci_u32_e32 v55, vcc_lo, 0, v35, vcc_lo
	v_lshlrev_b64 v[56:57], 2, v[4:5]
	global_load_dwordx2 v[54:55], v[54:55], off offset:1152
	v_add_co_u32 v4, vcc_lo, s8, v56
	v_add_co_ci_u32_e32 v35, vcc_lo, s9, v57, vcc_lo
	;; [unrolled: 7-line block ×5, first 2 shown]
	v_add_co_u32 v60, vcc_lo, 0x800, v1
	v_add_co_ci_u32_e32 v61, vcc_lo, 0, v4, vcc_lo
	v_add_co_u32 v8, vcc_lo, 0x800, v8
	v_add_co_ci_u32_e32 v9, vcc_lo, 0, v9, vcc_lo
	s_clause 0x1
	global_load_dwordx2 v[60:61], v[60:61], off offset:1152
	global_load_dwordx2 v[8:9], v[8:9], off offset:1152
	ds_read_u16 v4, v29 offset:2430
	ds_read_u16 v48, v29 offset:2268
	;; [unrolled: 1-line block ×22, first 2 shown]
	v_add_co_u32 v86, vcc_lo, s2, v2
	v_mul_hi_u32 v2, 0x50e89cc3, v33
	ds_read_u16 v33, v29 offset:1134
	ds_read_u16 v88, v29 offset:972
	;; [unrolled: 1-line block ×7, first 2 shown]
	ds_read_u16 v29, v29
	v_mov_b32_e32 v1, v5
	v_add_co_ci_u32_e32 v87, vcc_lo, s3, v3, vcc_lo
	v_lshlrev_b64 v[0:1], 2, v[0:1]
	v_lshrrev_b32_e32 v94, 8, v2
	v_add_co_u32 v0, vcc_lo, v86, v0
	v_add_co_ci_u32_e32 v1, vcc_lo, v87, v1, vcc_lo
	v_add_co_u32 v2, vcc_lo, 0x800, v0
	v_add_co_ci_u32_e32 v3, vcc_lo, 0, v1, vcc_lo
	;; [unrolled: 2-line block ×4, first 2 shown]
	s_waitcnt vmcnt(9)
	v_lshrrev_b32_e32 v95, 16, v10
	v_lshrrev_b32_e32 v96, 16, v11
	s_waitcnt lgkmcnt(25)
	v_mul_f16_e32 v97, v10, v68
	s_waitcnt lgkmcnt(19)
	v_mul_f16_e32 v98, v11, v74
	s_waitcnt vmcnt(8)
	v_lshrrev_b32_e32 v99, 16, v6
	v_lshrrev_b32_e32 v100, 16, v7
	v_mul_f16_e32 v101, v6, v69
	s_waitcnt lgkmcnt(18)
	v_mul_f16_e32 v102, v7, v75
	v_mul_f16_e32 v68, v95, v68
	;; [unrolled: 1-line block ×3, first 2 shown]
	v_fmac_f16_e32 v97, v47, v95
	v_fmac_f16_e32 v98, v49, v96
	v_mul_f16_e32 v69, v99, v69
	v_mul_f16_e32 v75, v100, v75
	v_fmac_f16_e32 v101, v45, v99
	v_fmac_f16_e32 v102, v46, v100
	v_fma_f16 v10, v47, v10, -v68
	v_fma_f16 v11, v49, v11, -v74
	v_add_f16_e32 v47, v97, v98
	s_waitcnt lgkmcnt(1)
	v_add_f16_e32 v49, v97, v93
	v_fma_f16 v6, v45, v6, -v69
	v_fma_f16 v7, v46, v7, -v75
	v_add_f16_e32 v45, v101, v102
	s_waitcnt lgkmcnt(0)
	v_add_f16_e32 v46, v101, v29
	v_sub_f16_e32 v68, v97, v98
	v_sub_f16_e32 v74, v10, v11
	v_fma_f16 v47, -0.5, v47, v93
	v_add_f16_e32 v49, v98, v49
	v_add_f16_e32 v75, v10, v11
	;; [unrolled: 1-line block ×3, first 2 shown]
	v_sub_f16_e32 v93, v6, v7
	v_fma_f16 v29, -0.5, v45, v29
	v_add_f16_e32 v45, v102, v46
	v_add_f16_e32 v46, v6, v7
	;; [unrolled: 1-line block ×3, first 2 shown]
	s_waitcnt vmcnt(7)
	v_lshrrev_b32_e32 v95, 16, v50
	v_lshrrev_b32_e32 v96, 16, v51
	v_mul_f16_e32 v97, v50, v76
	v_mul_f16_e32 v98, v51, v80
	v_sub_f16_e32 v69, v101, v102
	v_fmamk_f16 v99, v74, 0x3aee, v47
	v_fmac_f16_e32 v47, 0xbaee, v74
	v_fma_f16 v42, -0.5, v75, v42
	v_add_f16_e32 v10, v10, v11
	v_fma_f16 v41, -0.5, v46, v41
	v_add_f16_e32 v6, v6, v7
	v_mul_f16_e32 v7, v95, v76
	v_mul_f16_e32 v46, v96, v80
	v_fmac_f16_e32 v97, v43, v95
	v_fmac_f16_e32 v98, v44, v96
	s_waitcnt vmcnt(6)
	v_lshrrev_b32_e32 v74, 16, v52
	v_lshrrev_b32_e32 v75, 16, v53
	v_mul_f16_e32 v76, v52, v77
	v_mul_f16_e32 v80, v53, v81
	v_fmamk_f16 v11, v93, 0x3aee, v29
	v_fmac_f16_e32 v29, 0xbaee, v93
	v_fmamk_f16 v93, v68, 0xbaee, v42
	v_fmac_f16_e32 v42, 0x3aee, v68
	;; [unrolled: 2-line block ×3, first 2 shown]
	v_pack_b32_f16 v6, v6, v45
	v_pack_b32_f16 v10, v10, v49
	v_fma_f16 v7, v43, v50, -v7
	v_fma_f16 v43, v44, v51, -v46
	v_add_f16_e32 v44, v97, v98
	v_add_f16_e32 v45, v97, v70
	v_mul_f16_e32 v49, v74, v77
	v_mul_f16_e32 v50, v75, v81
	v_fmac_f16_e32 v76, v39, v74
	v_fmac_f16_e32 v80, v40, v75
	s_waitcnt vmcnt(5)
	v_lshrrev_b32_e32 v51, 16, v54
	v_lshrrev_b32_e32 v69, 16, v55
	v_mul_f16_e32 v74, v54, v78
	v_mul_f16_e32 v75, v55, v82
	global_store_dword v[0:1], v6, off
	v_pack_b32_f16 v6, v41, v29
	v_pack_b32_f16 v11, v68, v11
	global_store_dword v[0:1], v10, off offset:324
	v_pack_b32_f16 v10, v42, v47
	v_sub_f16_e32 v41, v7, v43
	v_fma_f16 v42, -0.5, v44, v70
	v_add_f16_e32 v44, v98, v45
	v_add_f16_e32 v45, v7, v43
	;; [unrolled: 1-line block ×3, first 2 shown]
	v_fma_f16 v39, v39, v52, -v49
	v_fma_f16 v40, v40, v53, -v50
	v_add_f16_e32 v47, v76, v80
	v_add_f16_e32 v49, v76, v71
	v_mul_f16_e32 v52, v51, v78
	v_mul_f16_e32 v53, v69, v82
	v_fmac_f16_e32 v74, v36, v51
	v_fmac_f16_e32 v75, v37, v69
	s_waitcnt vmcnt(4)
	v_lshrrev_b32_e32 v51, 16, v56
	v_lshrrev_b32_e32 v68, 16, v57
	v_mul_f16_e32 v69, v56, v79
	v_mul_f16_e32 v70, v57, v83
	v_pack_b32_f16 v29, v93, v99
	v_sub_f16_e32 v46, v97, v98
	global_store_dword v[2:3], v6, off offset:1192
	global_store_dword v[62:63], v11, off offset:336
	;; [unrolled: 1-line block ×4, first 2 shown]
	v_fmamk_f16 v29, v41, 0x3aee, v42
	v_fmac_f16_e32 v42, 0xbaee, v41
	v_fma_f16 v38, -0.5, v45, v38
	v_add_f16_e32 v41, v7, v43
	v_sub_f16_e32 v6, v39, v40
	v_fma_f16 v43, -0.5, v47, v71
	v_add_f16_e32 v45, v80, v49
	v_add_f16_e32 v7, v39, v40
	;; [unrolled: 1-line block ×3, first 2 shown]
	v_fma_f16 v11, v36, v54, -v52
	v_fma_f16 v36, v37, v55, -v53
	v_add_f16_e32 v37, v74, v75
	v_add_f16_e32 v39, v74, v33
	v_mul_f16_e32 v49, v51, v79
	v_mul_f16_e32 v52, v68, v83
	v_fmac_f16_e32 v69, v26, v51
	v_fmac_f16_e32 v70, v28, v68
	s_waitcnt vmcnt(3)
	v_lshrrev_b32_e32 v51, 16, v58
	v_lshrrev_b32_e32 v53, 16, v59
	v_mul_f16_e32 v54, v58, v4
	v_mul_f16_e32 v55, v59, v84
	v_fmamk_f16 v68, v46, 0xbaee, v38
	v_fmac_f16_e32 v38, 0x3aee, v46
	v_fmamk_f16 v46, v6, 0x3aee, v43
	v_fmac_f16_e32 v43, 0xbaee, v6
	v_fma_f16 v27, -0.5, v7, v27
	v_add_f16_e32 v40, v10, v40
	v_sub_f16_e32 v6, v11, v36
	v_fma_f16 v33, -0.5, v37, v33
	v_add_f16_e32 v37, v75, v39
	v_add_f16_e32 v7, v11, v36
	;; [unrolled: 1-line block ×3, first 2 shown]
	v_fma_f16 v11, v26, v56, -v49
	v_fma_f16 v26, v28, v57, -v52
	v_add_f16_e32 v28, v69, v70
	v_add_f16_e32 v39, v69, v88
	v_mul_f16_e32 v4, v51, v4
	v_mul_f16_e32 v52, v53, v84
	v_fmac_f16_e32 v54, v23, v51
	v_fmac_f16_e32 v55, v25, v53
	s_waitcnt vmcnt(2)
	v_lshrrev_b32_e32 v51, 16, v34
	v_lshrrev_b32_e32 v53, 16, v35
	v_mul_f16_e32 v56, v34, v48
	v_mul_f16_e32 v57, v35, v85
	v_sub_f16_e32 v50, v76, v80
	v_sub_f16_e32 v49, v69, v70
	v_add_f16_e32 v36, v10, v36
	v_fma_f16 v10, -0.5, v28, v88
	v_add_f16_e32 v28, v70, v39
	v_fma_f16 v4, v23, v58, -v4
	v_fma_f16 v23, v25, v59, -v52
	v_add_f16_e32 v25, v54, v55
	v_add_f16_e32 v39, v54, v89
	v_sub_f16_e32 v52, v54, v55
	v_mul_f16_e32 v48, v51, v48
	v_mul_f16_e32 v54, v53, v85
	v_fmac_f16_e32 v56, v20, v51
	v_fmac_f16_e32 v57, v22, v53
	s_waitcnt vmcnt(1)
	v_lshrrev_b32_e32 v51, 16, v60
	v_lshrrev_b32_e32 v53, 16, v61
	v_mul_f16_e32 v58, v60, v66
	v_mul_f16_e32 v59, v61, v72
	s_waitcnt vmcnt(0)
	v_lshrrev_b32_e32 v70, 16, v8
	v_lshrrev_b32_e32 v71, 16, v9
	v_sub_f16_e32 v47, v74, v75
	v_fmamk_f16 v69, v50, 0xbaee, v27
	v_fmac_f16_e32 v27, 0x3aee, v50
	v_fmamk_f16 v50, v6, 0x3aee, v33
	v_fmac_f16_e32 v33, 0xbaee, v6
	v_fma_f16 v24, -0.5, v7, v24
	v_sub_f16_e32 v6, v11, v26
	v_add_f16_e32 v7, v11, v26
	v_mul_f16_e32 v74, v8, v67
	v_mul_f16_e32 v75, v9, v73
	v_fma_f16 v20, v20, v34, -v48
	v_fma_f16 v22, v22, v35, -v54
	v_mul_f16_e32 v48, v51, v66
	v_mul_f16_e32 v54, v53, v72
	v_fmac_f16_e32 v58, v18, v51
	v_fmac_f16_e32 v59, v16, v53
	v_mul_f16_e32 v51, v70, v67
	v_mul_f16_e32 v53, v71, v73
	v_add_f16_e32 v11, v21, v11
	v_fmamk_f16 v76, v47, 0xbaee, v24
	v_fmac_f16_e32 v24, 0x3aee, v47
	v_fmamk_f16 v47, v6, 0x3aee, v10
	v_fmac_f16_e32 v10, 0xbaee, v6
	v_fma_f16 v21, -0.5, v7, v21
	v_sub_f16_e32 v6, v4, v23
	v_fma_f16 v25, -0.5, v25, v89
	v_add_f16_e32 v7, v4, v23
	v_add_f16_e32 v4, v19, v4
	v_add_f16_e32 v34, v56, v57
	v_add_f16_e32 v35, v56, v90
	v_fmac_f16_e32 v74, v15, v70
	v_fmac_f16_e32 v75, v14, v71
	v_fma_f16 v8, v15, v8, -v51
	v_fma_f16 v9, v14, v9, -v53
	v_add_f16_e32 v11, v11, v26
	v_add_f16_e32 v26, v55, v39
	v_fmamk_f16 v55, v49, 0xbaee, v21
	v_fmac_f16_e32 v21, 0x3aee, v49
	v_fmamk_f16 v49, v6, 0x3aee, v25
	v_fmac_f16_e32 v25, 0xbaee, v6
	v_fma_f16 v19, -0.5, v7, v19
	v_add_f16_e32 v23, v4, v23
	v_sub_f16_e32 v4, v20, v22
	v_fma_f16 v34, -0.5, v34, v90
	v_add_f16_e32 v6, v57, v35
	v_add_f16_e32 v7, v20, v22
	;; [unrolled: 1-line block ×3, first 2 shown]
	v_fma_f16 v18, v18, v60, -v48
	v_fma_f16 v16, v16, v61, -v54
	v_add_f16_e32 v35, v58, v59
	v_add_f16_e32 v48, v58, v91
	v_sub_f16_e32 v39, v56, v57
	v_add_f16_e32 v14, v74, v75
	v_add_f16_e32 v56, v8, v9
	;; [unrolled: 1-line block ×3, first 2 shown]
	v_fmamk_f16 v53, v52, 0xbaee, v19
	v_fmac_f16_e32 v19, 0x3aee, v52
	v_fmamk_f16 v52, v4, 0x3aee, v34
	v_fmac_f16_e32 v34, 0xbaee, v4
	v_fma_f16 v17, -0.5, v7, v17
	v_add_f16_e32 v7, v20, v22
	v_sub_f16_e32 v4, v18, v16
	v_fma_f16 v20, -0.5, v35, v91
	v_add_f16_e32 v22, v59, v48
	v_add_f16_e32 v35, v18, v16
	v_sub_f16_e32 v48, v8, v9
	v_add_f16_e32 v8, v12, v8
	v_sub_f16_e32 v51, v74, v75
	v_add_f16_e32 v18, v13, v18
	v_fma_f16 v14, -0.5, v14, v92
	v_fma_f16 v12, -0.5, v56, v12
	v_sub_f16_e32 v54, v58, v59
	v_add_f16_e32 v15, v75, v15
	v_fmamk_f16 v57, v39, 0xbaee, v17
	v_fmac_f16_e32 v17, 0x3aee, v39
	v_fmamk_f16 v39, v4, 0x3aee, v20
	v_fmac_f16_e32 v20, 0xbaee, v4
	v_fma_f16 v4, -0.5, v35, v13
	v_add_f16_e32 v8, v8, v9
	v_add_f16_e32 v13, v18, v16
	v_fmamk_f16 v16, v48, 0x3aee, v14
	v_fmac_f16_e32 v14, 0xbaee, v48
	v_fmamk_f16 v9, v51, 0xbaee, v12
	v_fmac_f16_e32 v12, 0x3aee, v51
	v_fmamk_f16 v18, v54, 0xbaee, v4
	v_pack_b32_f16 v8, v8, v15
	v_fmac_f16_e32 v4, 0x3aee, v54
	v_pack_b32_f16 v13, v13, v22
	v_pack_b32_f16 v12, v12, v14
	;; [unrolled: 1-line block ×3, first 2 shown]
	global_store_dword v[0:1], v8, off offset:648
	v_pack_b32_f16 v8, v4, v20
	v_pack_b32_f16 v14, v18, v39
	v_mul_u32_u24_e32 v4, 0x654, v94
	global_store_dword v[2:3], v12, off offset:1840
	global_store_dword v[62:63], v9, off offset:984
	;; [unrolled: 1-line block ×5, first 2 shown]
	v_mul_hi_u32 v8, 0x50e89cc3, v30
	v_pack_b32_f16 v9, v7, v6
	v_lshlrev_b64 v[6:7], 2, v[4:5]
	v_pack_b32_f16 v4, v17, v34
	v_pack_b32_f16 v12, v57, v52
	;; [unrolled: 1-line block ×3, first 2 shown]
	global_store_dword v[0:1], v9, off offset:1296
	v_pack_b32_f16 v14, v19, v25
	v_add_co_u32 v6, vcc_lo, v0, v6
	v_lshrrev_b32_e32 v15, 8, v8
	v_add_co_ci_u32_e32 v7, vcc_lo, v1, v7, vcc_lo
	v_add_co_u32 v8, vcc_lo, 0x1000, v6
	global_store_dword v[64:65], v4, off offset:440
	v_mul_u32_u24_e32 v4, 0x654, v15
	v_add_co_ci_u32_e32 v9, vcc_lo, 0, v7, vcc_lo
	global_store_dword v[62:63], v12, off offset:1632
	global_store_dword v[6:7], v13, off offset:1620
	;; [unrolled: 1-line block ×3, first 2 shown]
	v_lshlrev_b64 v[8:9], 2, v[4:5]
	v_mul_hi_u32 v4, 0x50e89cc3, v32
	v_add_co_u32 v6, vcc_lo, 0x1800, v6
	v_add_co_ci_u32_e32 v7, vcc_lo, 0, v7, vcc_lo
	v_add_co_u32 v8, vcc_lo, v0, v8
	v_add_co_ci_u32_e32 v9, vcc_lo, v1, v9, vcc_lo
	v_lshrrev_b32_e32 v4, 8, v4
	v_pack_b32_f16 v14, v53, v49
	v_pack_b32_f16 v16, v21, v10
	v_add_co_u32 v10, vcc_lo, 0x1000, v8
	v_mad_u32_u24 v4, 0x654, v4, v32
	v_pack_b32_f16 v15, v11, v28
	v_add_co_ci_u32_e32 v11, vcc_lo, 0, v9, vcc_lo
	global_store_dword v[6:7], v14, off offset:1956
	global_store_dword v[8:9], v15, off offset:1944
	;; [unrolled: 1-line block ×3, first 2 shown]
	v_lshlrev_b64 v[6:7], 2, v[4:5]
	v_mul_hi_u32 v4, 0x50e89cc3, v31
	v_add_co_u32 v12, vcc_lo, 0x2000, v8
	v_pack_b32_f16 v8, v36, v37
	v_add_co_ci_u32_e32 v13, vcc_lo, 0, v9, vcc_lo
	v_add_co_u32 v0, vcc_lo, 0x2000, v0
	global_store_dword v[2:3], v8, off offset:220
	v_lshrrev_b32_e32 v2, 8, v4
	v_add_co_ci_u32_e32 v1, vcc_lo, 0, v1, vcc_lo
	v_pack_b32_f16 v17, v55, v47
	v_pack_b32_f16 v9, v24, v33
	v_add_co_u32 v6, vcc_lo, v86, v6
	v_mad_u32_u24 v4, 0x654, v2, v31
	v_pack_b32_f16 v10, v76, v50
	v_add_co_ci_u32_e32 v7, vcc_lo, v87, v7, vcc_lo
	v_pack_b32_f16 v11, v40, v45
	global_store_dword v[12:13], v17, off offset:232
	global_store_dword v[64:65], v9, off offset:1412
	;; [unrolled: 1-line block ×3, first 2 shown]
	global_store_dword v[6:7], v11, off
	v_add_co_u32 v0, vcc_lo, 0x800, v6
	v_lshlrev_b64 v[2:3], 2, v[4:5]
	v_add_co_ci_u32_e32 v1, vcc_lo, 0, v7, vcc_lo
	v_add_co_u32 v4, vcc_lo, 0x1800, v6
	v_add_co_ci_u32_e32 v5, vcc_lo, 0, v7, vcc_lo
	v_add_co_u32 v2, vcc_lo, v86, v2
	v_add_co_ci_u32_e32 v3, vcc_lo, v87, v3, vcc_lo
	v_pack_b32_f16 v10, v27, v43
	v_add_co_u32 v6, vcc_lo, 0x800, v2
	v_pack_b32_f16 v11, v69, v46
	v_add_co_ci_u32_e32 v7, vcc_lo, 0, v3, vcc_lo
	v_pack_b32_f16 v12, v41, v44
	v_add_co_u32 v8, vcc_lo, 0x1800, v2
	v_pack_b32_f16 v13, v38, v42
	v_pack_b32_f16 v14, v68, v29
	v_add_co_ci_u32_e32 v9, vcc_lo, 0, v3, vcc_lo
	global_store_dword v[0:1], v10, off offset:1192
	global_store_dword v[4:5], v11, off offset:336
	global_store_dword v[2:3], v12, off
	global_store_dword v[6:7], v13, off offset:1192
	global_store_dword v[8:9], v14, off offset:336
.LBB0_13:
	s_endpgm
	.section	.rodata,"a",@progbits
	.p2align	6, 0x0
	.amdhsa_kernel fft_rtc_fwd_len2430_factors_10_3_3_3_3_3_wgs_81_tpt_81_halfLds_half_ip_CI_unitstride_sbrr_dirReg
		.amdhsa_group_segment_fixed_size 0
		.amdhsa_private_segment_fixed_size 0
		.amdhsa_kernarg_size 88
		.amdhsa_user_sgpr_count 6
		.amdhsa_user_sgpr_private_segment_buffer 1
		.amdhsa_user_sgpr_dispatch_ptr 0
		.amdhsa_user_sgpr_queue_ptr 0
		.amdhsa_user_sgpr_kernarg_segment_ptr 1
		.amdhsa_user_sgpr_dispatch_id 0
		.amdhsa_user_sgpr_flat_scratch_init 0
		.amdhsa_user_sgpr_private_segment_size 0
		.amdhsa_wavefront_size32 1
		.amdhsa_uses_dynamic_stack 0
		.amdhsa_system_sgpr_private_segment_wavefront_offset 0
		.amdhsa_system_sgpr_workgroup_id_x 1
		.amdhsa_system_sgpr_workgroup_id_y 0
		.amdhsa_system_sgpr_workgroup_id_z 0
		.amdhsa_system_sgpr_workgroup_info 0
		.amdhsa_system_vgpr_workitem_id 0
		.amdhsa_next_free_vgpr 119
		.amdhsa_next_free_sgpr 21
		.amdhsa_reserve_vcc 1
		.amdhsa_reserve_flat_scratch 0
		.amdhsa_float_round_mode_32 0
		.amdhsa_float_round_mode_16_64 0
		.amdhsa_float_denorm_mode_32 3
		.amdhsa_float_denorm_mode_16_64 3
		.amdhsa_dx10_clamp 1
		.amdhsa_ieee_mode 1
		.amdhsa_fp16_overflow 0
		.amdhsa_workgroup_processor_mode 1
		.amdhsa_memory_ordered 1
		.amdhsa_forward_progress 0
		.amdhsa_shared_vgpr_count 0
		.amdhsa_exception_fp_ieee_invalid_op 0
		.amdhsa_exception_fp_denorm_src 0
		.amdhsa_exception_fp_ieee_div_zero 0
		.amdhsa_exception_fp_ieee_overflow 0
		.amdhsa_exception_fp_ieee_underflow 0
		.amdhsa_exception_fp_ieee_inexact 0
		.amdhsa_exception_int_div_zero 0
	.end_amdhsa_kernel
	.text
.Lfunc_end0:
	.size	fft_rtc_fwd_len2430_factors_10_3_3_3_3_3_wgs_81_tpt_81_halfLds_half_ip_CI_unitstride_sbrr_dirReg, .Lfunc_end0-fft_rtc_fwd_len2430_factors_10_3_3_3_3_3_wgs_81_tpt_81_halfLds_half_ip_CI_unitstride_sbrr_dirReg
                                        ; -- End function
	.section	.AMDGPU.csdata,"",@progbits
; Kernel info:
; codeLenInByte = 20420
; NumSgprs: 23
; NumVgprs: 119
; ScratchSize: 0
; MemoryBound: 0
; FloatMode: 240
; IeeeMode: 1
; LDSByteSize: 0 bytes/workgroup (compile time only)
; SGPRBlocks: 2
; VGPRBlocks: 14
; NumSGPRsForWavesPerEU: 23
; NumVGPRsForWavesPerEU: 119
; Occupancy: 8
; WaveLimiterHint : 1
; COMPUTE_PGM_RSRC2:SCRATCH_EN: 0
; COMPUTE_PGM_RSRC2:USER_SGPR: 6
; COMPUTE_PGM_RSRC2:TRAP_HANDLER: 0
; COMPUTE_PGM_RSRC2:TGID_X_EN: 1
; COMPUTE_PGM_RSRC2:TGID_Y_EN: 0
; COMPUTE_PGM_RSRC2:TGID_Z_EN: 0
; COMPUTE_PGM_RSRC2:TIDIG_COMP_CNT: 0
	.text
	.p2alignl 6, 3214868480
	.fill 48, 4, 3214868480
	.type	__hip_cuid_b72d6646a365ce48,@object ; @__hip_cuid_b72d6646a365ce48
	.section	.bss,"aw",@nobits
	.globl	__hip_cuid_b72d6646a365ce48
__hip_cuid_b72d6646a365ce48:
	.byte	0                               ; 0x0
	.size	__hip_cuid_b72d6646a365ce48, 1

	.ident	"AMD clang version 19.0.0git (https://github.com/RadeonOpenCompute/llvm-project roc-6.4.0 25133 c7fe45cf4b819c5991fe208aaa96edf142730f1d)"
	.section	".note.GNU-stack","",@progbits
	.addrsig
	.addrsig_sym __hip_cuid_b72d6646a365ce48
	.amdgpu_metadata
---
amdhsa.kernels:
  - .args:
      - .actual_access:  read_only
        .address_space:  global
        .offset:         0
        .size:           8
        .value_kind:     global_buffer
      - .offset:         8
        .size:           8
        .value_kind:     by_value
      - .actual_access:  read_only
        .address_space:  global
        .offset:         16
        .size:           8
        .value_kind:     global_buffer
      - .actual_access:  read_only
        .address_space:  global
        .offset:         24
        .size:           8
        .value_kind:     global_buffer
      - .offset:         32
        .size:           8
        .value_kind:     by_value
      - .actual_access:  read_only
        .address_space:  global
        .offset:         40
        .size:           8
        .value_kind:     global_buffer
      - .actual_access:  read_only
        .address_space:  global
        .offset:         48
        .size:           8
        .value_kind:     global_buffer
      - .offset:         56
        .size:           4
        .value_kind:     by_value
      - .actual_access:  read_only
        .address_space:  global
        .offset:         64
        .size:           8
        .value_kind:     global_buffer
      - .actual_access:  read_only
        .address_space:  global
        .offset:         72
        .size:           8
        .value_kind:     global_buffer
      - .address_space:  global
        .offset:         80
        .size:           8
        .value_kind:     global_buffer
    .group_segment_fixed_size: 0
    .kernarg_segment_align: 8
    .kernarg_segment_size: 88
    .language:       OpenCL C
    .language_version:
      - 2
      - 0
    .max_flat_workgroup_size: 81
    .name:           fft_rtc_fwd_len2430_factors_10_3_3_3_3_3_wgs_81_tpt_81_halfLds_half_ip_CI_unitstride_sbrr_dirReg
    .private_segment_fixed_size: 0
    .sgpr_count:     23
    .sgpr_spill_count: 0
    .symbol:         fft_rtc_fwd_len2430_factors_10_3_3_3_3_3_wgs_81_tpt_81_halfLds_half_ip_CI_unitstride_sbrr_dirReg.kd
    .uniform_work_group_size: 1
    .uses_dynamic_stack: false
    .vgpr_count:     119
    .vgpr_spill_count: 0
    .wavefront_size: 32
    .workgroup_processor_mode: 1
amdhsa.target:   amdgcn-amd-amdhsa--gfx1030
amdhsa.version:
  - 1
  - 2
...

	.end_amdgpu_metadata
